;; amdgpu-corpus repo=ROCm/rocFFT kind=compiled arch=gfx1201 opt=O3
	.text
	.amdgcn_target "amdgcn-amd-amdhsa--gfx1201"
	.amdhsa_code_object_version 6
	.protected	fft_rtc_back_len714_factors_3_17_7_2_wgs_51_tpt_51_halfLds_dp_ip_CI_unitstride_sbrr_C2R_dirReg ; -- Begin function fft_rtc_back_len714_factors_3_17_7_2_wgs_51_tpt_51_halfLds_dp_ip_CI_unitstride_sbrr_C2R_dirReg
	.globl	fft_rtc_back_len714_factors_3_17_7_2_wgs_51_tpt_51_halfLds_dp_ip_CI_unitstride_sbrr_C2R_dirReg
	.p2align	8
	.type	fft_rtc_back_len714_factors_3_17_7_2_wgs_51_tpt_51_halfLds_dp_ip_CI_unitstride_sbrr_C2R_dirReg,@function
fft_rtc_back_len714_factors_3_17_7_2_wgs_51_tpt_51_halfLds_dp_ip_CI_unitstride_sbrr_C2R_dirReg: ; @fft_rtc_back_len714_factors_3_17_7_2_wgs_51_tpt_51_halfLds_dp_ip_CI_unitstride_sbrr_C2R_dirReg
; %bb.0:
	s_clause 0x2
	s_load_b128 s[4:7], s[0:1], 0x0
	s_load_b64 s[8:9], s[0:1], 0x50
	s_load_b64 s[10:11], s[0:1], 0x18
	v_mul_u32_u24_e32 v1, 0x506, v0
	v_mov_b32_e32 v3, 0
	s_delay_alu instid0(VALU_DEP_2) | instskip(NEXT) | instid1(VALU_DEP_1)
	v_lshrrev_b32_e32 v1, 16, v1
	v_add_nc_u32_e32 v5, ttmp9, v1
	v_mov_b32_e32 v1, 0
	v_mov_b32_e32 v2, 0
	;; [unrolled: 1-line block ×3, first 2 shown]
	s_wait_kmcnt 0x0
	v_cmp_lt_u64_e64 s2, s[6:7], 2
	s_delay_alu instid0(VALU_DEP_1)
	s_and_b32 vcc_lo, exec_lo, s2
	s_cbranch_vccnz .LBB0_8
; %bb.1:
	s_load_b64 s[2:3], s[0:1], 0x10
	v_mov_b32_e32 v1, 0
	v_mov_b32_e32 v2, 0
	s_add_nc_u64 s[12:13], s[10:11], 8
	s_mov_b64 s[14:15], 1
	s_wait_kmcnt 0x0
	s_add_nc_u64 s[16:17], s[2:3], 8
	s_mov_b32 s3, 0
.LBB0_2:                                ; =>This Inner Loop Header: Depth=1
	s_load_b64 s[18:19], s[16:17], 0x0
                                        ; implicit-def: $vgpr7_vgpr8
	s_mov_b32 s2, exec_lo
	s_wait_kmcnt 0x0
	v_or_b32_e32 v4, s19, v6
	s_delay_alu instid0(VALU_DEP_1)
	v_cmpx_ne_u64_e32 0, v[3:4]
	s_wait_alu 0xfffe
	s_xor_b32 s20, exec_lo, s2
	s_cbranch_execz .LBB0_4
; %bb.3:                                ;   in Loop: Header=BB0_2 Depth=1
	s_cvt_f32_u32 s2, s18
	s_cvt_f32_u32 s21, s19
	s_sub_nc_u64 s[24:25], 0, s[18:19]
	s_wait_alu 0xfffe
	s_delay_alu instid0(SALU_CYCLE_1) | instskip(SKIP_1) | instid1(SALU_CYCLE_2)
	s_fmamk_f32 s2, s21, 0x4f800000, s2
	s_wait_alu 0xfffe
	v_s_rcp_f32 s2, s2
	s_delay_alu instid0(TRANS32_DEP_1) | instskip(SKIP_1) | instid1(SALU_CYCLE_2)
	s_mul_f32 s2, s2, 0x5f7ffffc
	s_wait_alu 0xfffe
	s_mul_f32 s21, s2, 0x2f800000
	s_wait_alu 0xfffe
	s_delay_alu instid0(SALU_CYCLE_2) | instskip(SKIP_1) | instid1(SALU_CYCLE_2)
	s_trunc_f32 s21, s21
	s_wait_alu 0xfffe
	s_fmamk_f32 s2, s21, 0xcf800000, s2
	s_cvt_u32_f32 s23, s21
	s_wait_alu 0xfffe
	s_delay_alu instid0(SALU_CYCLE_1) | instskip(SKIP_1) | instid1(SALU_CYCLE_2)
	s_cvt_u32_f32 s22, s2
	s_wait_alu 0xfffe
	s_mul_u64 s[26:27], s[24:25], s[22:23]
	s_wait_alu 0xfffe
	s_mul_hi_u32 s29, s22, s27
	s_mul_i32 s28, s22, s27
	s_mul_hi_u32 s2, s22, s26
	s_mul_i32 s30, s23, s26
	s_wait_alu 0xfffe
	s_add_nc_u64 s[28:29], s[2:3], s[28:29]
	s_mul_hi_u32 s21, s23, s26
	s_mul_hi_u32 s31, s23, s27
	s_add_co_u32 s2, s28, s30
	s_wait_alu 0xfffe
	s_add_co_ci_u32 s2, s29, s21
	s_mul_i32 s26, s23, s27
	s_add_co_ci_u32 s27, s31, 0
	s_wait_alu 0xfffe
	s_add_nc_u64 s[26:27], s[2:3], s[26:27]
	s_wait_alu 0xfffe
	v_add_co_u32 v4, s2, s22, s26
	s_delay_alu instid0(VALU_DEP_1) | instskip(SKIP_1) | instid1(VALU_DEP_1)
	s_cmp_lg_u32 s2, 0
	s_add_co_ci_u32 s23, s23, s27
	v_readfirstlane_b32 s22, v4
	s_wait_alu 0xfffe
	s_delay_alu instid0(VALU_DEP_1)
	s_mul_u64 s[24:25], s[24:25], s[22:23]
	s_wait_alu 0xfffe
	s_mul_hi_u32 s27, s22, s25
	s_mul_i32 s26, s22, s25
	s_mul_hi_u32 s2, s22, s24
	s_mul_i32 s28, s23, s24
	s_wait_alu 0xfffe
	s_add_nc_u64 s[26:27], s[2:3], s[26:27]
	s_mul_hi_u32 s21, s23, s24
	s_mul_hi_u32 s22, s23, s25
	s_wait_alu 0xfffe
	s_add_co_u32 s2, s26, s28
	s_add_co_ci_u32 s2, s27, s21
	s_mul_i32 s24, s23, s25
	s_add_co_ci_u32 s25, s22, 0
	s_wait_alu 0xfffe
	s_add_nc_u64 s[24:25], s[2:3], s[24:25]
	s_wait_alu 0xfffe
	v_add_co_u32 v4, s2, v4, s24
	s_delay_alu instid0(VALU_DEP_1) | instskip(SKIP_1) | instid1(VALU_DEP_1)
	s_cmp_lg_u32 s2, 0
	s_add_co_ci_u32 s2, s23, s25
	v_mul_hi_u32 v13, v5, v4
	s_wait_alu 0xfffe
	v_mad_co_u64_u32 v[7:8], null, v5, s2, 0
	v_mad_co_u64_u32 v[9:10], null, v6, v4, 0
	;; [unrolled: 1-line block ×3, first 2 shown]
	s_delay_alu instid0(VALU_DEP_3) | instskip(SKIP_1) | instid1(VALU_DEP_4)
	v_add_co_u32 v4, vcc_lo, v13, v7
	s_wait_alu 0xfffd
	v_add_co_ci_u32_e32 v7, vcc_lo, 0, v8, vcc_lo
	s_delay_alu instid0(VALU_DEP_2) | instskip(SKIP_1) | instid1(VALU_DEP_2)
	v_add_co_u32 v4, vcc_lo, v4, v9
	s_wait_alu 0xfffd
	v_add_co_ci_u32_e32 v4, vcc_lo, v7, v10, vcc_lo
	s_wait_alu 0xfffd
	v_add_co_ci_u32_e32 v7, vcc_lo, 0, v12, vcc_lo
	s_delay_alu instid0(VALU_DEP_2) | instskip(SKIP_1) | instid1(VALU_DEP_2)
	v_add_co_u32 v4, vcc_lo, v4, v11
	s_wait_alu 0xfffd
	v_add_co_ci_u32_e32 v9, vcc_lo, 0, v7, vcc_lo
	s_delay_alu instid0(VALU_DEP_2) | instskip(SKIP_1) | instid1(VALU_DEP_3)
	v_mul_lo_u32 v10, s19, v4
	v_mad_co_u64_u32 v[7:8], null, s18, v4, 0
	v_mul_lo_u32 v11, s18, v9
	s_delay_alu instid0(VALU_DEP_2) | instskip(NEXT) | instid1(VALU_DEP_2)
	v_sub_co_u32 v7, vcc_lo, v5, v7
	v_add3_u32 v8, v8, v11, v10
	s_delay_alu instid0(VALU_DEP_1) | instskip(SKIP_1) | instid1(VALU_DEP_1)
	v_sub_nc_u32_e32 v10, v6, v8
	s_wait_alu 0xfffd
	v_subrev_co_ci_u32_e64 v10, s2, s19, v10, vcc_lo
	v_add_co_u32 v11, s2, v4, 2
	s_wait_alu 0xf1ff
	v_add_co_ci_u32_e64 v12, s2, 0, v9, s2
	v_sub_co_u32 v13, s2, v7, s18
	v_sub_co_ci_u32_e32 v8, vcc_lo, v6, v8, vcc_lo
	s_wait_alu 0xf1ff
	v_subrev_co_ci_u32_e64 v10, s2, 0, v10, s2
	s_delay_alu instid0(VALU_DEP_3) | instskip(NEXT) | instid1(VALU_DEP_3)
	v_cmp_le_u32_e32 vcc_lo, s18, v13
	v_cmp_eq_u32_e64 s2, s19, v8
	s_wait_alu 0xfffd
	v_cndmask_b32_e64 v13, 0, -1, vcc_lo
	v_cmp_le_u32_e32 vcc_lo, s19, v10
	s_wait_alu 0xfffd
	v_cndmask_b32_e64 v14, 0, -1, vcc_lo
	v_cmp_le_u32_e32 vcc_lo, s18, v7
	;; [unrolled: 3-line block ×3, first 2 shown]
	s_wait_alu 0xfffd
	v_cndmask_b32_e64 v15, 0, -1, vcc_lo
	v_cmp_eq_u32_e32 vcc_lo, s19, v10
	s_wait_alu 0xf1ff
	s_delay_alu instid0(VALU_DEP_2)
	v_cndmask_b32_e64 v7, v15, v7, s2
	s_wait_alu 0xfffd
	v_cndmask_b32_e32 v10, v14, v13, vcc_lo
	v_add_co_u32 v13, vcc_lo, v4, 1
	s_wait_alu 0xfffd
	v_add_co_ci_u32_e32 v14, vcc_lo, 0, v9, vcc_lo
	s_delay_alu instid0(VALU_DEP_3) | instskip(SKIP_2) | instid1(VALU_DEP_3)
	v_cmp_ne_u32_e32 vcc_lo, 0, v10
	s_wait_alu 0xfffd
	v_cndmask_b32_e32 v10, v13, v11, vcc_lo
	v_cndmask_b32_e32 v8, v14, v12, vcc_lo
	v_cmp_ne_u32_e32 vcc_lo, 0, v7
	s_wait_alu 0xfffd
	s_delay_alu instid0(VALU_DEP_2)
	v_dual_cndmask_b32 v7, v4, v10 :: v_dual_cndmask_b32 v8, v9, v8
.LBB0_4:                                ;   in Loop: Header=BB0_2 Depth=1
	s_wait_alu 0xfffe
	s_and_not1_saveexec_b32 s2, s20
	s_cbranch_execz .LBB0_6
; %bb.5:                                ;   in Loop: Header=BB0_2 Depth=1
	v_cvt_f32_u32_e32 v4, s18
	s_sub_co_i32 s20, 0, s18
	s_delay_alu instid0(VALU_DEP_1) | instskip(NEXT) | instid1(TRANS32_DEP_1)
	v_rcp_iflag_f32_e32 v4, v4
	v_mul_f32_e32 v4, 0x4f7ffffe, v4
	s_delay_alu instid0(VALU_DEP_1) | instskip(SKIP_1) | instid1(VALU_DEP_1)
	v_cvt_u32_f32_e32 v4, v4
	s_wait_alu 0xfffe
	v_mul_lo_u32 v7, s20, v4
	s_delay_alu instid0(VALU_DEP_1) | instskip(NEXT) | instid1(VALU_DEP_1)
	v_mul_hi_u32 v7, v4, v7
	v_add_nc_u32_e32 v4, v4, v7
	s_delay_alu instid0(VALU_DEP_1) | instskip(NEXT) | instid1(VALU_DEP_1)
	v_mul_hi_u32 v4, v5, v4
	v_mul_lo_u32 v7, v4, s18
	v_add_nc_u32_e32 v8, 1, v4
	s_delay_alu instid0(VALU_DEP_2) | instskip(NEXT) | instid1(VALU_DEP_1)
	v_sub_nc_u32_e32 v7, v5, v7
	v_subrev_nc_u32_e32 v9, s18, v7
	v_cmp_le_u32_e32 vcc_lo, s18, v7
	s_wait_alu 0xfffd
	s_delay_alu instid0(VALU_DEP_2) | instskip(NEXT) | instid1(VALU_DEP_1)
	v_dual_cndmask_b32 v7, v7, v9 :: v_dual_cndmask_b32 v4, v4, v8
	v_cmp_le_u32_e32 vcc_lo, s18, v7
	s_delay_alu instid0(VALU_DEP_2) | instskip(SKIP_1) | instid1(VALU_DEP_1)
	v_add_nc_u32_e32 v8, 1, v4
	s_wait_alu 0xfffd
	v_dual_cndmask_b32 v7, v4, v8 :: v_dual_mov_b32 v8, v3
.LBB0_6:                                ;   in Loop: Header=BB0_2 Depth=1
	s_wait_alu 0xfffe
	s_or_b32 exec_lo, exec_lo, s2
	s_load_b64 s[20:21], s[12:13], 0x0
	s_delay_alu instid0(VALU_DEP_1)
	v_mul_lo_u32 v4, v8, s18
	v_mul_lo_u32 v11, v7, s19
	v_mad_co_u64_u32 v[9:10], null, v7, s18, 0
	s_add_nc_u64 s[14:15], s[14:15], 1
	s_add_nc_u64 s[12:13], s[12:13], 8
	s_wait_alu 0xfffe
	v_cmp_ge_u64_e64 s2, s[14:15], s[6:7]
	s_add_nc_u64 s[16:17], s[16:17], 8
	s_delay_alu instid0(VALU_DEP_2) | instskip(NEXT) | instid1(VALU_DEP_3)
	v_add3_u32 v4, v10, v11, v4
	v_sub_co_u32 v5, vcc_lo, v5, v9
	s_wait_alu 0xfffd
	s_delay_alu instid0(VALU_DEP_2) | instskip(SKIP_3) | instid1(VALU_DEP_2)
	v_sub_co_ci_u32_e32 v4, vcc_lo, v6, v4, vcc_lo
	s_and_b32 vcc_lo, exec_lo, s2
	s_wait_kmcnt 0x0
	v_mul_lo_u32 v6, s21, v5
	v_mul_lo_u32 v4, s20, v4
	v_mad_co_u64_u32 v[1:2], null, s20, v5, v[1:2]
	s_delay_alu instid0(VALU_DEP_1)
	v_add3_u32 v2, v6, v2, v4
	s_wait_alu 0xfffe
	s_cbranch_vccnz .LBB0_9
; %bb.7:                                ;   in Loop: Header=BB0_2 Depth=1
	v_dual_mov_b32 v5, v7 :: v_dual_mov_b32 v6, v8
	s_branch .LBB0_2
.LBB0_8:
	v_dual_mov_b32 v8, v6 :: v_dual_mov_b32 v7, v5
.LBB0_9:
	s_lshl_b64 s[2:3], s[6:7], 3
	v_mul_hi_u32 v3, 0x5050506, v0
	s_wait_alu 0xfffe
	s_add_nc_u64 s[2:3], s[10:11], s[2:3]
	s_load_b64 s[2:3], s[2:3], 0x0
	s_load_b64 s[0:1], s[0:1], 0x20
	s_delay_alu instid0(VALU_DEP_1)
	v_mul_u32_u24_e32 v3, 51, v3
	s_wait_kmcnt 0x0
	v_mul_lo_u32 v4, s2, v8
	v_mul_lo_u32 v5, s3, v7
	v_mad_co_u64_u32 v[1:2], null, s2, v7, v[1:2]
	v_cmp_gt_u64_e32 vcc_lo, s[0:1], v[7:8]
	s_delay_alu instid0(VALU_DEP_2) | instskip(SKIP_2) | instid1(VALU_DEP_3)
	v_add3_u32 v2, v5, v2, v4
	v_sub_nc_u32_e32 v4, v0, v3
	v_mov_b32_e32 v5, 0
	v_lshlrev_b64_e32 v[70:71], 4, v[1:2]
	s_delay_alu instid0(VALU_DEP_3)
	v_mov_b32_e32 v68, v4
	s_and_saveexec_b32 s1, vcc_lo
	s_cbranch_execz .LBB0_13
; %bb.10:
	v_lshlrev_b64_e32 v[2:3], 4, v[4:5]
	s_delay_alu instid0(VALU_DEP_3) | instskip(SKIP_3) | instid1(VALU_DEP_3)
	v_add_co_u32 v0, s0, s8, v70
	s_wait_alu 0xf1ff
	v_add_co_ci_u32_e64 v1, s0, s9, v71, s0
	v_lshl_add_u32 v62, v4, 4, 0
	v_add_co_u32 v2, s0, v0, v2
	s_wait_alu 0xf1ff
	s_delay_alu instid0(VALU_DEP_3)
	v_add_co_ci_u32_e64 v3, s0, v1, v3, s0
	s_mov_b32 s2, exec_lo
	s_clause 0xd
	global_load_b128 v[6:9], v[2:3], off
	global_load_b128 v[10:13], v[2:3], off offset:816
	global_load_b128 v[14:17], v[2:3], off offset:1632
	;; [unrolled: 1-line block ×13, first 2 shown]
	v_dual_mov_b32 v2, v4 :: v_dual_mov_b32 v3, v5
	s_wait_loadcnt 0xd
	ds_store_b128 v62, v[6:9]
	s_wait_loadcnt 0xc
	ds_store_b128 v62, v[10:13] offset:816
	s_wait_loadcnt 0xb
	ds_store_b128 v62, v[14:17] offset:1632
	;; [unrolled: 2-line block ×13, first 2 shown]
	v_cmpx_eq_u32_e32 50, v4
	s_cbranch_execz .LBB0_12
; %bb.11:
	global_load_b128 v[5:8], v[0:1], off offset:11424
	v_mov_b32_e32 v2, 50
	v_dual_mov_b32 v0, 0 :: v_dual_mov_b32 v3, 0
	v_mov_b32_e32 v4, 50
	s_wait_loadcnt 0x0
	ds_store_b128 v0, v[5:8] offset:11424
.LBB0_12:
	s_wait_alu 0xfffe
	s_or_b32 exec_lo, exec_lo, s2
	v_dual_mov_b32 v68, v4 :: v_dual_mov_b32 v5, v3
	v_mov_b32_e32 v4, v2
.LBB0_13:
	s_wait_alu 0xfffe
	s_or_b32 exec_lo, exec_lo, s1
	s_delay_alu instid0(VALU_DEP_1)
	v_lshlrev_b32_e32 v0, 4, v68
	global_wb scope:SCOPE_SE
	s_wait_dscnt 0x0
	s_barrier_signal -1
	s_barrier_wait -1
	global_inv scope:SCOPE_SE
	v_add_nc_u32_e32 v246, 0, v0
	v_sub_nc_u32_e32 v10, 0, v0
	v_lshlrev_b64_e32 v[72:73], 4, v[4:5]
	s_mov_b32 s1, exec_lo
	ds_load_b64 v[6:7], v246
	ds_load_b64 v[8:9], v10 offset:11424
	s_wait_dscnt 0x0
	v_add_f64_e32 v[0:1], v[6:7], v[8:9]
	v_add_f64_e64 v[2:3], v[6:7], -v[8:9]
	v_cmpx_ne_u32_e32 0, v68
	s_wait_alu 0xfffe
	s_xor_b32 s1, exec_lo, s1
	s_cbranch_execz .LBB0_15
; %bb.14:
	v_add_co_u32 v0, s0, s4, v72
	s_wait_alu 0xf1ff
	v_add_co_ci_u32_e64 v1, s0, s5, v73, s0
	v_add_f64_e32 v[13:14], v[6:7], v[8:9]
	v_add_f64_e64 v[8:9], v[6:7], -v[8:9]
	global_load_b128 v[2:5], v[0:1], off offset:11376
	ds_load_b64 v[0:1], v10 offset:11432
	ds_load_b64 v[11:12], v246 offset:8
	s_wait_dscnt 0x0
	v_add_f64_e32 v[6:7], v[0:1], v[11:12]
	v_add_f64_e64 v[0:1], v[11:12], -v[0:1]
	s_wait_loadcnt 0x0
	v_fma_f64 v[11:12], v[8:9], v[4:5], v[13:14]
	v_fma_f64 v[13:14], -v[8:9], v[4:5], v[13:14]
	s_delay_alu instid0(VALU_DEP_3) | instskip(SKIP_1) | instid1(VALU_DEP_4)
	v_fma_f64 v[15:16], v[6:7], v[4:5], -v[0:1]
	v_fma_f64 v[17:18], v[6:7], v[4:5], v[0:1]
	v_fma_f64 v[0:1], -v[6:7], v[2:3], v[11:12]
	s_delay_alu instid0(VALU_DEP_4) | instskip(NEXT) | instid1(VALU_DEP_4)
	v_fma_f64 v[4:5], v[6:7], v[2:3], v[13:14]
	v_fma_f64 v[6:7], v[8:9], v[2:3], v[15:16]
	s_delay_alu instid0(VALU_DEP_4)
	v_fma_f64 v[2:3], v[8:9], v[2:3], v[17:18]
	ds_store_b128 v10, v[4:7] offset:11424
.LBB0_15:
	s_wait_alu 0xfffe
	s_and_not1_saveexec_b32 s0, s1
	s_cbranch_execz .LBB0_17
; %bb.16:
	v_mov_b32_e32 v8, 0
	ds_load_b128 v[4:7], v8 offset:5712
	s_wait_dscnt 0x0
	v_add_f64_e32 v[4:5], v[4:5], v[4:5]
	v_mul_f64_e32 v[6:7], -2.0, v[6:7]
	ds_store_b128 v8, v[4:7] offset:5712
.LBB0_17:
	s_wait_alu 0xfffe
	s_or_b32 exec_lo, exec_lo, s0
	v_mov_b32_e32 v69, 0
	s_add_nc_u64 s[0:1], s[4:5], 0x2c70
	s_mov_b32 s3, 0x3febb67a
	s_delay_alu instid0(VALU_DEP_1) | instskip(SKIP_1) | instid1(VALU_DEP_1)
	v_lshlrev_b64_e32 v[74:75], 4, v[68:69]
	s_wait_alu 0xfffe
	v_add_co_u32 v23, s0, s0, v74
	s_wait_alu 0xf1ff
	s_delay_alu instid0(VALU_DEP_2)
	v_add_co_ci_u32_e64 v24, s0, s1, v75, s0
	s_mov_b32 s0, 0xe8584caa
	s_mov_b32 s1, 0xbfebb67a
	s_wait_alu 0xfffe
	s_mov_b32 s2, s0
	s_clause 0x1
	global_load_b128 v[4:7], v[23:24], off offset:816
	global_load_b128 v[11:14], v[23:24], off offset:1632
	ds_store_b128 v246, v[0:3]
	ds_load_b128 v[0:3], v246 offset:816
	ds_load_b128 v[15:18], v10 offset:10608
	global_load_b128 v[19:22], v[23:24], off offset:2448
	s_wait_dscnt 0x0
	v_add_f64_e32 v[8:9], v[0:1], v[15:16]
	v_add_f64_e32 v[25:26], v[17:18], v[2:3]
	v_add_f64_e64 v[15:16], v[0:1], -v[15:16]
	v_add_f64_e64 v[0:1], v[2:3], -v[17:18]
	s_wait_loadcnt 0x2
	s_delay_alu instid0(VALU_DEP_2) | instskip(NEXT) | instid1(VALU_DEP_2)
	v_fma_f64 v[2:3], v[15:16], v[6:7], v[8:9]
	v_fma_f64 v[17:18], v[25:26], v[6:7], v[0:1]
	v_fma_f64 v[8:9], -v[15:16], v[6:7], v[8:9]
	v_fma_f64 v[27:28], v[25:26], v[6:7], -v[0:1]
	s_delay_alu instid0(VALU_DEP_4) | instskip(NEXT) | instid1(VALU_DEP_4)
	v_fma_f64 v[0:1], -v[25:26], v[4:5], v[2:3]
	v_fma_f64 v[2:3], v[15:16], v[4:5], v[17:18]
	s_delay_alu instid0(VALU_DEP_4) | instskip(NEXT) | instid1(VALU_DEP_4)
	v_fma_f64 v[6:7], v[25:26], v[4:5], v[8:9]
	v_fma_f64 v[8:9], v[15:16], v[4:5], v[27:28]
	ds_store_b128 v246, v[0:3] offset:816
	ds_store_b128 v10, v[6:9] offset:10608
	ds_load_b128 v[0:3], v246 offset:1632
	ds_load_b128 v[4:7], v10 offset:9792
	global_load_b128 v[15:18], v[23:24], off offset:3264
	s_wait_dscnt 0x0
	v_add_f64_e32 v[8:9], v[0:1], v[4:5]
	v_add_f64_e32 v[25:26], v[6:7], v[2:3]
	v_add_f64_e64 v[27:28], v[0:1], -v[4:5]
	v_add_f64_e64 v[0:1], v[2:3], -v[6:7]
	s_wait_loadcnt 0x2
	s_delay_alu instid0(VALU_DEP_2) | instskip(NEXT) | instid1(VALU_DEP_2)
	v_fma_f64 v[2:3], v[27:28], v[13:14], v[8:9]
	v_fma_f64 v[4:5], v[25:26], v[13:14], v[0:1]
	v_fma_f64 v[6:7], -v[27:28], v[13:14], v[8:9]
	v_fma_f64 v[8:9], v[25:26], v[13:14], -v[0:1]
	s_delay_alu instid0(VALU_DEP_4) | instskip(NEXT) | instid1(VALU_DEP_4)
	v_fma_f64 v[0:1], -v[25:26], v[11:12], v[2:3]
	v_fma_f64 v[2:3], v[27:28], v[11:12], v[4:5]
	s_delay_alu instid0(VALU_DEP_4) | instskip(NEXT) | instid1(VALU_DEP_4)
	v_fma_f64 v[4:5], v[25:26], v[11:12], v[6:7]
	v_fma_f64 v[6:7], v[27:28], v[11:12], v[8:9]
	ds_store_b128 v246, v[0:3] offset:1632
	ds_store_b128 v10, v[4:7] offset:9792
	ds_load_b128 v[0:3], v246 offset:2448
	ds_load_b128 v[4:7], v10 offset:8976
	global_load_b128 v[11:14], v[23:24], off offset:4080
	s_wait_dscnt 0x0
	v_add_f64_e32 v[8:9], v[0:1], v[4:5]
	v_add_f64_e32 v[25:26], v[6:7], v[2:3]
	v_add_f64_e64 v[27:28], v[0:1], -v[4:5]
	v_add_f64_e64 v[0:1], v[2:3], -v[6:7]
	s_wait_loadcnt 0x2
	s_delay_alu instid0(VALU_DEP_2) | instskip(NEXT) | instid1(VALU_DEP_2)
	v_fma_f64 v[2:3], v[27:28], v[21:22], v[8:9]
	v_fma_f64 v[4:5], v[25:26], v[21:22], v[0:1]
	v_fma_f64 v[6:7], -v[27:28], v[21:22], v[8:9]
	v_fma_f64 v[8:9], v[25:26], v[21:22], -v[0:1]
	s_delay_alu instid0(VALU_DEP_4) | instskip(NEXT) | instid1(VALU_DEP_4)
	v_fma_f64 v[0:1], -v[25:26], v[19:20], v[2:3]
	v_fma_f64 v[2:3], v[27:28], v[19:20], v[4:5]
	s_delay_alu instid0(VALU_DEP_4) | instskip(NEXT) | instid1(VALU_DEP_4)
	v_fma_f64 v[4:5], v[25:26], v[19:20], v[6:7]
	v_fma_f64 v[6:7], v[27:28], v[19:20], v[8:9]
	ds_store_b128 v246, v[0:3] offset:2448
	ds_store_b128 v10, v[4:7] offset:8976
	ds_load_b128 v[0:3], v246 offset:3264
	ds_load_b128 v[4:7], v10 offset:8160
	global_load_b128 v[19:22], v[23:24], off offset:4896
	s_wait_dscnt 0x0
	v_add_f64_e32 v[8:9], v[0:1], v[4:5]
	v_add_f64_e32 v[23:24], v[6:7], v[2:3]
	v_add_f64_e64 v[25:26], v[0:1], -v[4:5]
	v_add_f64_e64 v[0:1], v[2:3], -v[6:7]
	s_wait_loadcnt 0x2
	s_delay_alu instid0(VALU_DEP_2) | instskip(NEXT) | instid1(VALU_DEP_2)
	v_fma_f64 v[2:3], v[25:26], v[17:18], v[8:9]
	v_fma_f64 v[4:5], v[23:24], v[17:18], v[0:1]
	v_fma_f64 v[6:7], -v[25:26], v[17:18], v[8:9]
	v_fma_f64 v[8:9], v[23:24], v[17:18], -v[0:1]
	s_delay_alu instid0(VALU_DEP_4) | instskip(NEXT) | instid1(VALU_DEP_4)
	v_fma_f64 v[0:1], -v[23:24], v[15:16], v[2:3]
	v_fma_f64 v[2:3], v[25:26], v[15:16], v[4:5]
	s_delay_alu instid0(VALU_DEP_4) | instskip(NEXT) | instid1(VALU_DEP_4)
	v_fma_f64 v[4:5], v[23:24], v[15:16], v[6:7]
	v_fma_f64 v[6:7], v[25:26], v[15:16], v[8:9]
	ds_store_b128 v246, v[0:3] offset:3264
	ds_store_b128 v10, v[4:7] offset:8160
	ds_load_b128 v[0:3], v246 offset:4080
	ds_load_b128 v[4:7], v10 offset:7344
	s_wait_dscnt 0x0
	v_add_f64_e32 v[8:9], v[0:1], v[4:5]
	v_add_f64_e32 v[15:16], v[6:7], v[2:3]
	v_add_f64_e64 v[17:18], v[0:1], -v[4:5]
	v_add_f64_e64 v[0:1], v[2:3], -v[6:7]
	s_wait_loadcnt 0x1
	s_delay_alu instid0(VALU_DEP_2) | instskip(NEXT) | instid1(VALU_DEP_2)
	v_fma_f64 v[2:3], v[17:18], v[13:14], v[8:9]
	v_fma_f64 v[4:5], v[15:16], v[13:14], v[0:1]
	v_fma_f64 v[6:7], -v[17:18], v[13:14], v[8:9]
	v_fma_f64 v[8:9], v[15:16], v[13:14], -v[0:1]
	s_delay_alu instid0(VALU_DEP_4) | instskip(NEXT) | instid1(VALU_DEP_4)
	v_fma_f64 v[0:1], -v[15:16], v[11:12], v[2:3]
	v_fma_f64 v[2:3], v[17:18], v[11:12], v[4:5]
	s_delay_alu instid0(VALU_DEP_4) | instskip(NEXT) | instid1(VALU_DEP_4)
	v_fma_f64 v[4:5], v[15:16], v[11:12], v[6:7]
	v_fma_f64 v[6:7], v[17:18], v[11:12], v[8:9]
	ds_store_b128 v246, v[0:3] offset:4080
	ds_store_b128 v10, v[4:7] offset:7344
	ds_load_b128 v[0:3], v246 offset:4896
	ds_load_b128 v[4:7], v10 offset:6528
	s_wait_dscnt 0x0
	v_add_f64_e32 v[8:9], v[0:1], v[4:5]
	v_add_f64_e32 v[11:12], v[6:7], v[2:3]
	v_add_f64_e64 v[13:14], v[0:1], -v[4:5]
	v_add_f64_e64 v[0:1], v[2:3], -v[6:7]
	s_wait_loadcnt 0x0
	s_delay_alu instid0(VALU_DEP_2) | instskip(NEXT) | instid1(VALU_DEP_2)
	v_fma_f64 v[2:3], v[13:14], v[21:22], v[8:9]
	v_fma_f64 v[4:5], v[11:12], v[21:22], v[0:1]
	v_fma_f64 v[6:7], -v[13:14], v[21:22], v[8:9]
	v_fma_f64 v[8:9], v[11:12], v[21:22], -v[0:1]
	s_delay_alu instid0(VALU_DEP_4) | instskip(NEXT) | instid1(VALU_DEP_4)
	v_fma_f64 v[0:1], -v[11:12], v[19:20], v[2:3]
	v_fma_f64 v[2:3], v[13:14], v[19:20], v[4:5]
	s_delay_alu instid0(VALU_DEP_4) | instskip(NEXT) | instid1(VALU_DEP_4)
	v_fma_f64 v[4:5], v[11:12], v[19:20], v[6:7]
	v_fma_f64 v[6:7], v[13:14], v[19:20], v[8:9]
	ds_store_b128 v246, v[0:3] offset:4896
	ds_store_b128 v10, v[4:7] offset:6528
	global_wb scope:SCOPE_SE
	s_wait_dscnt 0x0
	s_barrier_signal -1
	s_barrier_wait -1
	global_inv scope:SCOPE_SE
	global_wb scope:SCOPE_SE
	s_barrier_signal -1
	s_barrier_wait -1
	global_inv scope:SCOPE_SE
	ds_load_b128 v[0:3], v246 offset:3808
	ds_load_b128 v[4:7], v246 offset:7616
	;; [unrolled: 1-line block ×11, first 2 shown]
	ds_load_b128 v[44:47], v246
	ds_load_b128 v[48:51], v246 offset:816
	ds_load_b128 v[52:55], v246 offset:1632
	;; [unrolled: 1-line block ×3, first 2 shown]
	global_wb scope:SCOPE_SE
	s_wait_dscnt 0x0
	s_barrier_signal -1
	s_barrier_wait -1
	global_inv scope:SCOPE_SE
	v_add_f64_e32 v[60:61], v[0:1], v[4:5]
	v_add_f64_e32 v[62:63], v[2:3], v[6:7]
	;; [unrolled: 1-line block ×20, first 2 shown]
	v_add_f64_e64 v[108:109], v[2:3], -v[6:7]
	v_add_f64_e64 v[110:111], v[0:1], -v[4:5]
	;; [unrolled: 1-line block ×6, first 2 shown]
	v_fma_f64 v[60:61], v[60:61], -0.5, v[44:45]
	v_fma_f64 v[62:63], v[62:63], -0.5, v[46:47]
	;; [unrolled: 1-line block ×5, first 2 shown]
	v_add_f64_e64 v[76:77], v[16:17], -v[20:21]
	v_fma_f64 v[54:55], v[78:79], -0.5, v[54:55]
	v_add_f64_e64 v[78:79], v[30:31], -v[26:27]
	v_fma_f64 v[56:57], v[80:81], -0.5, v[56:57]
	;; [unrolled: 2-line block ×4, first 2 shown]
	v_fma_f64 v[86:87], v[86:87], -0.5, v[38:39]
	v_add_f64_e32 v[0:1], v[88:89], v[4:5]
	v_add_f64_e32 v[2:3], v[90:91], v[6:7]
	;; [unrolled: 1-line block ×10, first 2 shown]
	v_lshlrev_b32_e32 v8, 5, v68
	s_delay_alu instid0(VALU_DEP_1)
	v_add_nc_u32_e32 v8, v246, v8
	v_fma_f64 v[12:13], v[108:109], s[0:1], v[60:61]
	s_wait_alu 0xfffe
	v_fma_f64 v[4:5], v[108:109], s[2:3], v[60:61]
	v_fma_f64 v[14:15], v[110:111], s[2:3], v[62:63]
	;; [unrolled: 1-line block ×19, first 2 shown]
	s_mov_b32 s1, exec_lo
	ds_store_b128 v8, v[0:3]
	ds_store_b128 v8, v[12:15] offset:16
	ds_store_b128 v8, v[4:7] offset:32
	;; [unrolled: 1-line block ×11, first 2 shown]
	v_cmpx_gt_u32_e32 34, v68
	s_cbranch_execz .LBB0_19
; %bb.18:
	ds_store_b128 v8, v[44:47] offset:9792
	ds_store_b128 v8, v[56:59] offset:9808
	;; [unrolled: 1-line block ×3, first 2 shown]
.LBB0_19:
	s_wait_alu 0xfffe
	s_or_b32 exec_lo, exec_lo, s1
	v_cmp_gt_u32_e64 s0, 42, v68
	global_wb scope:SCOPE_SE
	s_wait_dscnt 0x0
	s_barrier_signal -1
	s_barrier_wait -1
	global_inv scope:SCOPE_SE
                                        ; implicit-def: $vgpr26_vgpr27
                                        ; implicit-def: $vgpr10_vgpr11
	s_and_saveexec_b32 s1, s0
	s_cbranch_execz .LBB0_21
; %bb.20:
	ds_load_b128 v[0:3], v246
	ds_load_b128 v[12:15], v246 offset:672
	ds_load_b128 v[4:7], v246 offset:1344
	;; [unrolled: 1-line block ×16, first 2 shown]
.LBB0_21:
	s_wait_alu 0xfffe
	s_or_b32 exec_lo, exec_lo, s1
	global_wb scope:SCOPE_SE
	s_wait_dscnt 0x0
	s_barrier_signal -1
	s_barrier_wait -1
	global_inv scope:SCOPE_SE
	s_and_saveexec_b32 s33, s0
	s_cbranch_execz .LBB0_23
; %bb.22:
	v_and_b32_e32 v69, 0xff, v68
	s_mov_b32 s44, 0xeb564b22
	s_mov_b32 s45, 0x3fefdd0d
	;; [unrolled: 1-line block ×4, first 2 shown]
	v_mul_lo_u16 v69, 0xab, v69
	s_mov_b32 s10, 0x923c349f
	s_mov_b32 s38, 0x7c9e640b
	;; [unrolled: 1-line block ×4, first 2 shown]
	v_lshrrev_b16 v69, 9, v69
	s_mov_b32 s2, 0x4363dd80
	s_mov_b32 s36, 0x5d8e7cdc
	;; [unrolled: 1-line block ×4, first 2 shown]
	v_mul_lo_u16 v76, v69, 3
	s_mov_b32 s11, 0xbfeec746
	s_mov_b32 s39, 0x3feca52d
	;; [unrolled: 1-line block ×4, first 2 shown]
	v_sub_nc_u16 v76, v68, v76
	s_mov_b32 s3, 0xbfe0d888
	s_mov_b32 s37, 0x3fd71e95
	;; [unrolled: 1-line block ×4, first 2 shown]
	v_and_b32_e32 v247, 0xff, v76
	s_mov_b32 s17, 0xbfe58eea
	s_mov_b32 s15, 0xbfeca52d
	;; [unrolled: 1-line block ×4, first 2 shown]
	v_lshlrev_b32_e32 v104, 8, v247
	s_mov_b32 s16, s42
	s_mov_b32 s40, s36
	;; [unrolled: 1-line block ×4, first 2 shown]
	s_clause 0x1
	global_load_b128 v[78:81], v104, s[4:5] offset:112
	global_load_b128 v[82:85], v104, s[4:5] offset:96
	s_mov_b32 s24, 0x6ed5f1bb
	s_mov_b32 s28, 0x75d4884
	;; [unrolled: 1-line block ×13, first 2 shown]
	s_wait_alu 0xfffe
	s_mov_b32 s48, s6
	s_mov_b32 s47, 0x3feec746
	;; [unrolled: 1-line block ×5, first 2 shown]
	s_wait_loadcnt 0x1
	v_mul_f64_e32 v[76:77], v[54:55], v[80:81]
	s_delay_alu instid0(VALU_DEP_1) | instskip(SKIP_1) | instid1(VALU_DEP_1)
	v_fma_f64 v[76:77], v[52:53], v[78:79], v[76:77]
	v_mul_f64_e32 v[52:53], v[52:53], v[80:81]
	v_fma_f64 v[52:53], v[54:55], v[78:79], -v[52:53]
	s_clause 0x1
	global_load_b128 v[78:81], v104, s[4:5] offset:128
	global_load_b128 v[86:89], v104, s[4:5] offset:144
	s_wait_loadcnt 0x1
	v_mul_f64_e32 v[54:55], v[50:51], v[80:81]
	s_delay_alu instid0(VALU_DEP_1) | instskip(SKIP_1) | instid1(VALU_DEP_2)
	v_fma_f64 v[54:55], v[48:49], v[78:79], v[54:55]
	v_mul_f64_e32 v[48:49], v[48:49], v[80:81]
	v_add_f64_e64 v[184:185], v[76:77], -v[54:55]
	s_delay_alu instid0(VALU_DEP_2) | instskip(SKIP_2) | instid1(VALU_DEP_4)
	v_fma_f64 v[48:49], v[50:51], v[78:79], -v[48:49]
	v_mul_f64_e32 v[50:51], v[42:43], v[84:85]
	v_add_f64_e32 v[150:151], v[76:77], v[54:55]
	v_mul_f64_e32 v[218:219], s[44:45], v[184:185]
	s_delay_alu instid0(VALU_DEP_4) | instskip(NEXT) | instid1(VALU_DEP_4)
	v_add_f64_e64 v[186:187], v[52:53], -v[48:49]
	v_fma_f64 v[50:51], v[40:41], v[82:83], v[50:51]
	v_mul_f64_e32 v[40:41], v[40:41], v[84:85]
	s_delay_alu instid0(VALU_DEP_3) | instskip(NEXT) | instid1(VALU_DEP_2)
	v_mul_f64_e32 v[220:221], s[44:45], v[186:187]
	v_fma_f64 v[80:81], v[42:43], v[82:83], -v[40:41]
	s_wait_loadcnt 0x0
	v_mul_f64_e32 v[40:41], v[66:67], v[88:89]
	s_delay_alu instid0(VALU_DEP_1) | instskip(SKIP_1) | instid1(VALU_DEP_2)
	v_fma_f64 v[78:79], v[64:65], v[86:87], v[40:41]
	v_mul_f64_e32 v[40:41], v[64:65], v[88:89]
	v_add_f64_e64 v[180:181], v[50:51], -v[78:79]
	s_delay_alu instid0(VALU_DEP_2)
	v_fma_f64 v[64:65], v[66:67], v[86:87], -v[40:41]
	s_clause 0x1
	global_load_b128 v[40:43], v104, s[4:5] offset:80
	global_load_b128 v[90:93], v104, s[4:5] offset:64
	v_mul_f64_e32 v[212:213], s[10:11], v[180:181]
	v_add_f64_e64 v[182:183], v[80:81], -v[64:65]
	v_mul_f64_e32 v[228:229], s[12:13], v[180:181]
	s_delay_alu instid0(VALU_DEP_2) | instskip(SKIP_2) | instid1(VALU_DEP_1)
	v_mul_f64_e32 v[214:215], s[10:11], v[182:183]
	s_wait_loadcnt 0x1
	v_mul_f64_e32 v[66:67], v[38:39], v[42:43]
	v_fma_f64 v[82:83], v[36:37], v[40:41], v[66:67]
	v_mul_f64_e32 v[36:37], v[36:37], v[42:43]
	s_delay_alu instid0(VALU_DEP_1)
	v_fma_f64 v[84:85], v[38:39], v[40:41], -v[36:37]
	s_clause 0x1
	global_load_b128 v[36:39], v104, s[4:5] offset:160
	global_load_b128 v[40:43], v104, s[4:5] offset:176
	s_wait_loadcnt 0x1
	v_mul_f64_e32 v[66:67], v[62:63], v[38:39]
	v_mul_f64_e32 v[38:39], v[60:61], v[38:39]
	s_delay_alu instid0(VALU_DEP_2) | instskip(NEXT) | instid1(VALU_DEP_2)
	v_fma_f64 v[66:67], v[60:61], v[36:37], v[66:67]
	v_fma_f64 v[60:61], v[62:63], v[36:37], -v[38:39]
	v_mul_f64_e32 v[36:37], v[34:35], v[92:93]
	s_delay_alu instid0(VALU_DEP_3) | instskip(NEXT) | instid1(VALU_DEP_3)
	v_add_f64_e64 v[172:173], v[82:83], -v[66:67]
	v_add_f64_e64 v[174:175], v[84:85], -v[60:61]
	s_delay_alu instid0(VALU_DEP_3) | instskip(SKIP_1) | instid1(VALU_DEP_4)
	v_fma_f64 v[88:89], v[32:33], v[90:91], v[36:37]
	v_mul_f64_e32 v[32:33], v[32:33], v[92:93]
	v_mul_f64_e32 v[208:209], s[38:39], v[172:173]
	s_delay_alu instid0(VALU_DEP_4) | instskip(SKIP_1) | instid1(VALU_DEP_4)
	v_mul_f64_e32 v[210:211], s[38:39], v[174:175]
	v_mul_f64_e32 v[232:233], s[40:41], v[172:173]
	v_fma_f64 v[90:91], v[34:35], v[90:91], -v[32:33]
	s_wait_loadcnt 0x0
	v_mul_f64_e32 v[32:33], v[46:47], v[42:43]
	v_mul_f64_e32 v[226:227], s[40:41], v[174:175]
	s_delay_alu instid0(VALU_DEP_2) | instskip(SKIP_1) | instid1(VALU_DEP_2)
	v_fma_f64 v[62:63], v[44:45], v[40:41], v[32:33]
	v_mul_f64_e32 v[32:33], v[44:45], v[42:43]
	v_add_f64_e64 v[168:169], v[88:89], -v[62:63]
	s_delay_alu instid0(VALU_DEP_2)
	v_fma_f64 v[86:87], v[46:47], v[40:41], -v[32:33]
	s_clause 0x1
	global_load_b128 v[32:35], v104, s[4:5] offset:48
	global_load_b128 v[36:39], v104, s[4:5] offset:32
	v_mul_f64_e32 v[204:205], s[6:7], v[168:169]
	v_add_f64_e64 v[170:171], v[90:91], -v[86:87]
	v_mul_f64_e32 v[236:237], s[42:43], v[168:169]
	s_delay_alu instid0(VALU_DEP_2) | instskip(SKIP_3) | instid1(VALU_DEP_1)
	v_mul_f64_e32 v[206:207], s[6:7], v[170:171]
	v_mul_f64_e32 v[230:231], s[42:43], v[170:171]
	s_wait_loadcnt 0x1
	v_mul_f64_e32 v[40:41], v[30:31], v[34:35]
	v_fma_f64 v[94:95], v[28:29], v[32:33], v[40:41]
	v_mul_f64_e32 v[28:29], v[28:29], v[34:35]
	s_delay_alu instid0(VALU_DEP_1)
	v_fma_f64 v[96:97], v[30:31], v[32:33], -v[28:29]
	s_clause 0x1
	global_load_b128 v[28:31], v104, s[4:5] offset:192
	global_load_b128 v[32:35], v104, s[4:5] offset:208
	s_wait_loadcnt 0x1
	v_mul_f64_e32 v[40:41], v[58:59], v[30:31]
	v_mul_f64_e32 v[30:31], v[56:57], v[30:31]
	s_delay_alu instid0(VALU_DEP_2) | instskip(NEXT) | instid1(VALU_DEP_2)
	v_fma_f64 v[92:93], v[56:57], v[28:29], v[40:41]
	v_fma_f64 v[56:57], v[58:59], v[28:29], -v[30:31]
	v_mul_f64_e32 v[28:29], v[18:19], v[38:39]
	s_delay_alu instid0(VALU_DEP_3) | instskip(NEXT) | instid1(VALU_DEP_3)
	v_add_f64_e64 v[164:165], v[94:95], -v[92:93]
	v_add_f64_e64 v[166:167], v[96:97], -v[56:57]
	s_delay_alu instid0(VALU_DEP_3) | instskip(SKIP_1) | instid1(VALU_DEP_4)
	v_fma_f64 v[58:59], v[16:17], v[36:37], v[28:29]
	v_mul_f64_e32 v[16:17], v[16:17], v[38:39]
	v_mul_f64_e32 v[240:241], s[46:47], v[164:165]
	s_delay_alu instid0(VALU_DEP_4) | instskip(SKIP_1) | instid1(VALU_DEP_4)
	v_mul_f64_e32 v[202:203], s[42:43], v[166:167]
	v_mul_f64_e32 v[234:235], s[46:47], v[166:167]
	v_fma_f64 v[98:99], v[18:19], v[36:37], -v[16:17]
	s_wait_loadcnt 0x0
	v_mul_f64_e32 v[16:17], v[22:23], v[34:35]
	s_delay_alu instid0(VALU_DEP_1)
	v_fma_f64 v[100:101], v[20:21], v[32:33], v[16:17]
	v_mul_f64_e32 v[16:17], v[20:21], v[34:35]
	s_clause 0x1
	global_load_b128 v[18:21], v104, s[4:5]
	global_load_b128 v[28:31], v104, s[4:5] offset:16
	v_add_f64_e64 v[160:161], v[58:59], -v[100:101]
	v_fma_f64 v[102:103], v[22:23], v[32:33], -v[16:17]
	s_delay_alu instid0(VALU_DEP_1) | instskip(SKIP_2) | instid1(VALU_DEP_1)
	v_add_f64_e64 v[162:163], v[98:99], -v[102:103]
	s_wait_loadcnt 0x1
	v_mul_f64_e32 v[16:17], v[14:15], v[20:21]
	v_fma_f64 v[16:17], v[12:13], v[18:19], v[16:17]
	v_mul_f64_e32 v[12:13], v[12:13], v[20:21]
	s_delay_alu instid0(VALU_DEP_1)
	v_fma_f64 v[12:13], v[14:15], v[18:19], -v[12:13]
	s_clause 0x1
	global_load_b128 v[18:21], v104, s[4:5] offset:240
	global_load_b128 v[32:35], v104, s[4:5] offset:224
	s_wait_loadcnt 0x1
	v_mul_f64_e32 v[14:15], v[26:27], v[20:21]
	s_delay_alu instid0(VALU_DEP_1) | instskip(SKIP_1) | instid1(VALU_DEP_2)
	v_fma_f64 v[104:105], v[24:25], v[18:19], v[14:15]
	v_mul_f64_e32 v[14:15], v[24:25], v[20:21]
	v_add_f64_e32 v[124:125], v[16:17], v[104:105]
	s_delay_alu instid0(VALU_DEP_2) | instskip(SKIP_1) | instid1(VALU_DEP_2)
	v_fma_f64 v[106:107], v[26:27], v[18:19], -v[14:15]
	v_mul_f64_e32 v[14:15], v[6:7], v[30:31]
	v_add_f64_e32 v[24:25], v[12:13], v[106:107]
	s_delay_alu instid0(VALU_DEP_2) | instskip(SKIP_1) | instid1(VALU_DEP_1)
	v_fma_f64 v[112:113], v[4:5], v[28:29], v[14:15]
	v_mul_f64_e32 v[4:5], v[4:5], v[30:31]
	v_fma_f64 v[114:115], v[6:7], v[28:29], -v[4:5]
	s_wait_loadcnt 0x0
	v_mul_f64_e32 v[4:5], v[10:11], v[34:35]
	s_delay_alu instid0(VALU_DEP_1) | instskip(SKIP_1) | instid1(VALU_DEP_2)
	v_fma_f64 v[108:109], v[8:9], v[32:33], v[4:5]
	v_mul_f64_e32 v[4:5], v[8:9], v[34:35]
	v_add_f64_e64 v[156:157], v[112:113], -v[108:109]
	s_delay_alu instid0(VALU_DEP_2) | instskip(SKIP_1) | instid1(VALU_DEP_3)
	v_fma_f64 v[110:111], v[10:11], v[32:33], -v[4:5]
	v_add_f64_e64 v[4:5], v[16:17], -v[104:105]
	v_mul_f64_e32 v[248:249], s[6:7], v[156:157]
	s_delay_alu instid0(VALU_DEP_3) | instskip(NEXT) | instid1(VALU_DEP_3)
	v_add_f64_e64 v[158:159], v[114:115], -v[110:111]
	v_mul_f64_e32 v[18:19], s[12:13], v[4:5]
	v_mul_f64_e32 v[6:7], s[0:1], v[4:5]
	;; [unrolled: 1-line block ×9, first 2 shown]
	v_fma_f64 v[34:35], v[24:25], s[20:21], v[18:19]
	v_fma_f64 v[36:37], v[24:25], s[20:21], -v[18:19]
	v_add_f64_e64 v[18:19], v[12:13], -v[106:107]
	v_fma_f64 v[26:27], v[24:25], s[30:31], v[6:7]
	v_fma_f64 v[6:7], v[24:25], s[30:31], -v[6:7]
	v_fma_f64 v[28:29], v[24:25], s[22:23], v[8:9]
	v_fma_f64 v[8:9], v[24:25], s[22:23], -v[8:9]
	;; [unrolled: 2-line block ×7, first 2 shown]
	v_add_f64_e32 v[34:35], v[2:3], v[34:35]
	v_mul_f64_e32 v[20:21], s[0:1], v[18:19]
	v_mul_f64_e32 v[22:23], s[2:3], v[18:19]
	;; [unrolled: 1-line block ×8, first 2 shown]
	v_add_f64_e32 v[194:195], v[2:3], v[28:29]
	v_add_f64_e32 v[190:191], v[2:3], v[40:41]
	;; [unrolled: 1-line block ×4, first 2 shown]
	v_mul_f64_e32 v[8:9], s[36:37], v[158:159]
	v_add_f64_e32 v[6:7], v[2:3], v[6:7]
	v_add_f64_e32 v[154:155], v[2:3], v[4:5]
	v_mul_f64_e32 v[4:5], s[36:37], v[156:157]
	v_add_f64_e32 v[42:43], v[2:3], v[42:43]
	v_add_f64_e32 v[46:47], v[2:3], v[46:47]
	v_add_f64_e32 v[116:117], v[2:3], v[116:117]
	v_fma_f64 v[126:127], v[124:125], s[30:31], -v[20:21]
	v_fma_f64 v[20:21], v[124:125], s[30:31], v[20:21]
	v_fma_f64 v[128:129], v[124:125], s[22:23], -v[22:23]
	v_fma_f64 v[22:23], v[124:125], s[22:23], v[22:23]
	;; [unrolled: 2-line block ×8, first 2 shown]
	v_add_f64_e32 v[120:121], v[2:3], v[12:13]
	v_add_f64_e32 v[122:123], v[0:1], v[16:17]
	;; [unrolled: 1-line block ×26, first 2 shown]
	v_mul_f64_e32 v[10:11], s[2:3], v[160:161]
	v_add_f64_e32 v[126:127], v[112:113], v[108:109]
	v_add_f64_e32 v[130:131], v[58:59], v[100:101]
	;; [unrolled: 1-line block ×5, first 2 shown]
	v_fma_f64 v[0:1], v[124:125], s[34:35], v[4:5]
	v_fma_f64 v[4:5], v[124:125], s[34:35], -v[4:5]
	v_fma_f64 v[2:3], v[126:127], s[34:35], -v[8:9]
	v_add_f64_e32 v[98:99], v[114:115], v[98:99]
	v_add_f64_e32 v[58:59], v[112:113], v[58:59]
	;; [unrolled: 1-line block ×3, first 2 shown]
	v_fma_f64 v[12:13], v[128:129], s[22:23], v[10:11]
	v_add_f64_e32 v[4:5], v[4:5], v[6:7]
	v_fma_f64 v[6:7], v[126:127], s[34:35], v[8:9]
	v_fma_f64 v[8:9], v[128:129], s[22:23], -v[10:11]
	v_add_f64_e32 v[2:3], v[2:3], v[146:147]
	v_fma_f64 v[10:11], v[150:151], s[20:21], v[220:221]
	v_add_f64_e32 v[96:97], v[98:99], v[96:97]
	v_add_f64_e32 v[58:59], v[58:59], v[94:95]
	;; [unrolled: 1-line block ×3, first 2 shown]
	v_mul_f64_e32 v[12:13], s[2:3], v[162:163]
	v_add_f64_e32 v[6:7], v[6:7], v[192:193]
	v_add_f64_e32 v[4:5], v[8:9], v[4:5]
	v_mul_f64_e32 v[192:193], s[12:13], v[160:161]
	v_add_f64_e32 v[58:59], v[58:59], v[88:89]
	v_fma_f64 v[14:15], v[130:131], s[22:23], -v[12:13]
	v_fma_f64 v[8:9], v[130:131], s[22:23], v[12:13]
	v_mul_f64_e32 v[12:13], s[38:39], v[156:157]
	s_delay_alu instid0(VALU_DEP_4) | instskip(NEXT) | instid1(VALU_DEP_4)
	v_add_f64_e32 v[58:59], v[58:59], v[82:83]
	v_add_f64_e32 v[2:3], v[14:15], v[2:3]
	v_mul_f64_e32 v[14:15], s[42:43], v[164:165]
	v_add_f64_e32 v[6:7], v[8:9], v[6:7]
	s_delay_alu instid0(VALU_DEP_2) | instskip(SKIP_2) | instid1(VALU_DEP_3)
	v_fma_f64 v[134:135], v[132:133], s[28:29], v[14:15]
	v_fma_f64 v[8:9], v[132:133], s[28:29], -v[14:15]
	v_mul_f64_e32 v[14:15], s[38:39], v[158:159]
	v_add_f64_e32 v[0:1], v[134:135], v[0:1]
	v_add_f64_e32 v[134:135], v[94:95], v[92:93]
	s_delay_alu instid0(VALU_DEP_4) | instskip(NEXT) | instid1(VALU_DEP_2)
	v_add_f64_e32 v[4:5], v[8:9], v[4:5]
	v_fma_f64 v[136:137], v[134:135], s[28:29], -v[202:203]
	v_fma_f64 v[8:9], v[134:135], s[28:29], v[202:203]
	s_delay_alu instid0(VALU_DEP_2) | instskip(SKIP_1) | instid1(VALU_DEP_3)
	v_add_f64_e32 v[2:3], v[136:137], v[2:3]
	v_add_f64_e32 v[136:137], v[90:91], v[86:87]
	;; [unrolled: 1-line block ×4, first 2 shown]
	s_delay_alu instid0(VALU_DEP_3) | instskip(SKIP_1) | instid1(VALU_DEP_2)
	v_fma_f64 v[138:139], v[136:137], s[24:25], v[204:205]
	v_fma_f64 v[8:9], v[136:137], s[24:25], -v[204:205]
	v_add_f64_e32 v[0:1], v[138:139], v[0:1]
	v_add_f64_e32 v[138:139], v[88:89], v[62:63]
	s_delay_alu instid0(VALU_DEP_3) | instskip(NEXT) | instid1(VALU_DEP_2)
	v_add_f64_e32 v[4:5], v[8:9], v[4:5]
	v_fma_f64 v[140:141], v[138:139], s[24:25], -v[206:207]
	v_fma_f64 v[8:9], v[138:139], s[24:25], v[206:207]
	s_delay_alu instid0(VALU_DEP_2) | instskip(SKIP_1) | instid1(VALU_DEP_3)
	v_add_f64_e32 v[2:3], v[140:141], v[2:3]
	v_add_f64_e32 v[140:141], v[84:85], v[60:61]
	;; [unrolled: 1-line block ×4, first 2 shown]
	s_delay_alu instid0(VALU_DEP_3) | instskip(SKIP_1) | instid1(VALU_DEP_2)
	v_fma_f64 v[142:143], v[140:141], s[26:27], v[208:209]
	v_fma_f64 v[8:9], v[140:141], s[26:27], -v[208:209]
	v_add_f64_e32 v[0:1], v[142:143], v[0:1]
	v_add_f64_e32 v[142:143], v[82:83], v[66:67]
	s_delay_alu instid0(VALU_DEP_3) | instskip(NEXT) | instid1(VALU_DEP_2)
	v_add_f64_e32 v[4:5], v[8:9], v[4:5]
	v_fma_f64 v[144:145], v[142:143], s[26:27], -v[210:211]
	v_fma_f64 v[8:9], v[142:143], s[26:27], v[210:211]
	s_delay_alu instid0(VALU_DEP_2) | instskip(SKIP_1) | instid1(VALU_DEP_3)
	v_add_f64_e32 v[2:3], v[144:145], v[2:3]
	v_add_f64_e32 v[144:145], v[80:81], v[64:65]
	;; [unrolled: 1-line block ×4, first 2 shown]
	s_delay_alu instid0(VALU_DEP_3) | instskip(SKIP_1) | instid1(VALU_DEP_2)
	v_fma_f64 v[146:147], v[144:145], s[18:19], v[212:213]
	v_fma_f64 v[8:9], v[144:145], s[18:19], -v[212:213]
	v_add_f64_e32 v[0:1], v[146:147], v[0:1]
	v_add_f64_e32 v[146:147], v[50:51], v[78:79]
	s_delay_alu instid0(VALU_DEP_3) | instskip(SKIP_1) | instid1(VALU_DEP_3)
	v_add_f64_e32 v[4:5], v[8:9], v[4:5]
	v_add_f64_e32 v[50:51], v[58:59], v[50:51]
	v_fma_f64 v[148:149], v[146:147], s[18:19], -v[214:215]
	v_fma_f64 v[8:9], v[146:147], s[18:19], v[214:215]
	s_delay_alu instid0(VALU_DEP_3) | instskip(NEXT) | instid1(VALU_DEP_3)
	v_add_f64_e32 v[50:51], v[50:51], v[76:77]
	v_add_f64_e32 v[216:217], v[148:149], v[2:3]
	;; [unrolled: 1-line block ×3, first 2 shown]
	s_delay_alu instid0(VALU_DEP_4) | instskip(SKIP_2) | instid1(VALU_DEP_4)
	v_add_f64_e32 v[8:9], v[8:9], v[6:7]
	v_add_f64_e32 v[52:53], v[80:81], v[52:53]
	;; [unrolled: 1-line block ×3, first 2 shown]
	v_fma_f64 v[6:7], v[148:149], s[20:21], -v[218:219]
	v_fma_f64 v[2:3], v[148:149], s[20:21], v[218:219]
	v_mul_f64_e32 v[218:219], s[10:11], v[184:185]
	v_add_f64_e32 v[48:49], v[52:53], v[48:49]
	v_add_f64_e32 v[50:51], v[50:51], v[78:79]
	v_add_f64_e32 v[6:7], v[6:7], v[4:5]
	v_add_f64_e32 v[4:5], v[10:11], v[8:9]
	v_fma_f64 v[8:9], v[124:125], s[26:27], v[12:13]
	v_fma_f64 v[10:11], v[126:127], s[26:27], -v[14:15]
	v_fma_f64 v[12:13], v[124:125], s[26:27], -v[12:13]
	v_fma_f64 v[14:15], v[126:127], s[26:27], v[14:15]
	v_add_f64_e32 v[2:3], v[2:3], v[0:1]
	v_fma_f64 v[0:1], v[150:151], s[20:21], -v[220:221]
	v_mul_f64_e32 v[220:221], s[10:11], v[186:187]
	v_add_f64_e32 v[48:49], v[48:49], v[64:65]
	v_add_f64_e32 v[50:51], v[50:51], v[66:67]
	;; [unrolled: 1-line block ×3, first 2 shown]
	v_fma_f64 v[194:195], v[128:129], s[20:21], v[192:193]
	v_add_f64_e32 v[10:11], v[10:11], v[196:197]
	v_add_f64_e32 v[12:13], v[12:13], v[198:199]
	v_fma_f64 v[192:193], v[128:129], s[20:21], -v[192:193]
	v_add_f64_e32 v[14:15], v[14:15], v[200:201]
	v_add_f64_e32 v[0:1], v[0:1], v[216:217]
	;; [unrolled: 1-line block ×5, first 2 shown]
	v_mul_f64_e32 v[194:195], s[12:13], v[162:163]
	v_add_f64_e32 v[12:13], v[192:193], v[12:13]
	v_add_f64_e32 v[48:49], v[48:49], v[86:87]
	;; [unrolled: 1-line block ×3, first 2 shown]
	s_delay_alu instid0(VALU_DEP_4)
	v_fma_f64 v[196:197], v[130:131], s[20:21], -v[194:195]
	v_fma_f64 v[192:193], v[130:131], s[20:21], v[194:195]
	v_fma_f64 v[194:195], v[150:151], s[18:19], v[220:221]
	v_add_f64_e32 v[48:49], v[48:49], v[56:57]
	v_add_f64_e32 v[50:51], v[50:51], v[100:101]
	;; [unrolled: 1-line block ×3, first 2 shown]
	v_mul_f64_e32 v[196:197], s[48:49], v[164:165]
	v_add_f64_e32 v[14:15], v[192:193], v[14:15]
	v_add_f64_e32 v[48:49], v[48:49], v[102:103]
	;; [unrolled: 1-line block ×3, first 2 shown]
	s_delay_alu instid0(VALU_DEP_4) | instskip(SKIP_1) | instid1(VALU_DEP_4)
	v_fma_f64 v[202:203], v[132:133], s[24:25], v[196:197]
	v_fma_f64 v[192:193], v[132:133], s[24:25], -v[196:197]
	v_add_f64_e32 v[48:49], v[48:49], v[110:111]
	s_delay_alu instid0(VALU_DEP_3) | instskip(SKIP_1) | instid1(VALU_DEP_4)
	v_add_f64_e32 v[8:9], v[202:203], v[8:9]
	v_mul_f64_e32 v[202:203], s[48:49], v[166:167]
	v_add_f64_e32 v[12:13], v[192:193], v[12:13]
	s_delay_alu instid0(VALU_DEP_4) | instskip(SKIP_1) | instid1(VALU_DEP_4)
	v_add_f64_e32 v[50:51], v[48:49], v[106:107]
	v_add_f64_e32 v[48:49], v[52:53], v[104:105]
	v_fma_f64 v[204:205], v[134:135], s[24:25], -v[202:203]
	v_fma_f64 v[192:193], v[134:135], s[24:25], v[202:203]
	s_delay_alu instid0(VALU_DEP_2) | instskip(SKIP_1) | instid1(VALU_DEP_3)
	v_add_f64_e32 v[10:11], v[204:205], v[10:11]
	v_mul_f64_e32 v[204:205], s[40:41], v[168:169]
	v_add_f64_e32 v[14:15], v[192:193], v[14:15]
	s_delay_alu instid0(VALU_DEP_2) | instskip(SKIP_1) | instid1(VALU_DEP_2)
	v_fma_f64 v[206:207], v[136:137], s[34:35], v[204:205]
	v_fma_f64 v[192:193], v[136:137], s[34:35], -v[204:205]
	v_add_f64_e32 v[8:9], v[206:207], v[8:9]
	v_mul_f64_e32 v[206:207], s[40:41], v[170:171]
	s_delay_alu instid0(VALU_DEP_3) | instskip(NEXT) | instid1(VALU_DEP_2)
	v_add_f64_e32 v[12:13], v[192:193], v[12:13]
	v_fma_f64 v[208:209], v[138:139], s[34:35], -v[206:207]
	v_fma_f64 v[192:193], v[138:139], s[34:35], v[206:207]
	s_delay_alu instid0(VALU_DEP_2) | instskip(SKIP_1) | instid1(VALU_DEP_3)
	v_add_f64_e32 v[10:11], v[208:209], v[10:11]
	v_mul_f64_e32 v[208:209], s[0:1], v[172:173]
	v_add_f64_e32 v[14:15], v[192:193], v[14:15]
	s_delay_alu instid0(VALU_DEP_2) | instskip(SKIP_1) | instid1(VALU_DEP_2)
	v_fma_f64 v[210:211], v[140:141], s[30:31], v[208:209]
	v_fma_f64 v[192:193], v[140:141], s[30:31], -v[208:209]
	v_add_f64_e32 v[8:9], v[210:211], v[8:9]
	v_mul_f64_e32 v[210:211], s[0:1], v[174:175]
	s_delay_alu instid0(VALU_DEP_3) | instskip(NEXT) | instid1(VALU_DEP_2)
	;; [unrolled: 13-line block ×3, first 2 shown]
	v_add_f64_e32 v[12:13], v[192:193], v[12:13]
	v_fma_f64 v[192:193], v[146:147], s[28:29], v[214:215]
	v_fma_f64 v[216:217], v[146:147], s[28:29], -v[214:215]
	s_delay_alu instid0(VALU_DEP_2) | instskip(SKIP_1) | instid1(VALU_DEP_3)
	v_add_f64_e32 v[192:193], v[192:193], v[14:15]
	v_fma_f64 v[14:15], v[148:149], s[18:19], -v[218:219]
	v_add_f64_e32 v[216:217], v[216:217], v[10:11]
	v_fma_f64 v[10:11], v[148:149], s[18:19], v[218:219]
	s_delay_alu instid0(VALU_DEP_3) | instskip(SKIP_2) | instid1(VALU_DEP_4)
	v_add_f64_e32 v[14:15], v[14:15], v[12:13]
	v_add_f64_e32 v[12:13], v[194:195], v[192:193]
	v_mul_f64_e32 v[192:193], s[46:47], v[156:157]
	v_add_f64_e32 v[10:11], v[10:11], v[8:9]
	v_fma_f64 v[8:9], v[150:151], s[18:19], -v[220:221]
	s_delay_alu instid0(VALU_DEP_3) | instskip(SKIP_1) | instid1(VALU_DEP_3)
	v_fma_f64 v[194:195], v[124:125], s[18:19], v[192:193]
	v_fma_f64 v[192:193], v[124:125], s[18:19], -v[192:193]
	v_add_f64_e32 v[8:9], v[8:9], v[216:217]
	s_delay_alu instid0(VALU_DEP_3) | instskip(SKIP_1) | instid1(VALU_DEP_4)
	v_add_f64_e32 v[18:19], v[194:195], v[18:19]
	v_mul_f64_e32 v[194:195], s[46:47], v[158:159]
	v_add_f64_e32 v[22:23], v[192:193], v[22:23]
	s_delay_alu instid0(VALU_DEP_2) | instskip(SKIP_1) | instid1(VALU_DEP_2)
	v_fma_f64 v[196:197], v[126:127], s[18:19], -v[194:195]
	v_fma_f64 v[192:193], v[126:127], s[18:19], v[194:195]
	v_add_f64_e32 v[16:17], v[196:197], v[16:17]
	v_mul_f64_e32 v[196:197], s[40:41], v[160:161]
	s_delay_alu instid0(VALU_DEP_3) | instskip(NEXT) | instid1(VALU_DEP_2)
	v_add_f64_e32 v[20:21], v[192:193], v[20:21]
	v_fma_f64 v[198:199], v[128:129], s[34:35], v[196:197]
	v_fma_f64 v[192:193], v[128:129], s[34:35], -v[196:197]
	s_delay_alu instid0(VALU_DEP_2) | instskip(SKIP_1) | instid1(VALU_DEP_3)
	v_add_f64_e32 v[18:19], v[198:199], v[18:19]
	v_mul_f64_e32 v[198:199], s[40:41], v[162:163]
	v_add_f64_e32 v[22:23], v[192:193], v[22:23]
	s_delay_alu instid0(VALU_DEP_2) | instskip(SKIP_1) | instid1(VALU_DEP_2)
	v_fma_f64 v[200:201], v[130:131], s[34:35], -v[198:199]
	v_fma_f64 v[192:193], v[130:131], s[34:35], v[198:199]
	v_add_f64_e32 v[16:17], v[200:201], v[16:17]
	v_mul_f64_e32 v[200:201], s[2:3], v[164:165]
	s_delay_alu instid0(VALU_DEP_3) | instskip(NEXT) | instid1(VALU_DEP_2)
	v_add_f64_e32 v[20:21], v[192:193], v[20:21]
	v_fma_f64 v[202:203], v[132:133], s[22:23], v[200:201]
	v_fma_f64 v[192:193], v[132:133], s[22:23], -v[200:201]
	s_delay_alu instid0(VALU_DEP_2) | instskip(SKIP_1) | instid1(VALU_DEP_3)
	;; [unrolled: 13-line block ×6, first 2 shown]
	v_add_f64_e32 v[18:19], v[218:219], v[18:19]
	v_mul_f64_e32 v[218:219], s[38:39], v[186:187]
	v_add_f64_e32 v[22:23], v[192:193], v[22:23]
	v_mul_f64_e32 v[192:193], s[50:51], v[156:157]
	s_delay_alu instid0(VALU_DEP_3) | instskip(SKIP_1) | instid1(VALU_DEP_2)
	v_fma_f64 v[194:195], v[150:151], s[26:27], v[218:219]
	v_fma_f64 v[220:221], v[150:151], s[26:27], -v[218:219]
	v_add_f64_e32 v[20:21], v[194:195], v[20:21]
	s_delay_alu instid0(VALU_DEP_4) | instskip(SKIP_1) | instid1(VALU_DEP_4)
	v_fma_f64 v[194:195], v[124:125], s[22:23], v[192:193]
	v_fma_f64 v[192:193], v[124:125], s[22:23], -v[192:193]
	v_add_f64_e32 v[16:17], v[220:221], v[16:17]
	s_delay_alu instid0(VALU_DEP_3) | instskip(SKIP_1) | instid1(VALU_DEP_4)
	v_add_f64_e32 v[26:27], v[194:195], v[26:27]
	v_mul_f64_e32 v[194:195], s[50:51], v[158:159]
	v_add_f64_e32 v[30:31], v[192:193], v[30:31]
	s_delay_alu instid0(VALU_DEP_2) | instskip(SKIP_1) | instid1(VALU_DEP_2)
	v_fma_f64 v[196:197], v[126:127], s[22:23], -v[194:195]
	v_fma_f64 v[192:193], v[126:127], s[22:23], v[194:195]
	v_add_f64_e32 v[24:25], v[196:197], v[24:25]
	v_mul_f64_e32 v[196:197], s[42:43], v[160:161]
	s_delay_alu instid0(VALU_DEP_3) | instskip(NEXT) | instid1(VALU_DEP_2)
	v_add_f64_e32 v[28:29], v[192:193], v[28:29]
	v_fma_f64 v[198:199], v[128:129], s[28:29], v[196:197]
	v_fma_f64 v[192:193], v[128:129], s[28:29], -v[196:197]
	s_delay_alu instid0(VALU_DEP_2) | instskip(SKIP_1) | instid1(VALU_DEP_3)
	v_add_f64_e32 v[26:27], v[198:199], v[26:27]
	v_mul_f64_e32 v[198:199], s[42:43], v[162:163]
	v_add_f64_e32 v[30:31], v[192:193], v[30:31]
	s_delay_alu instid0(VALU_DEP_2) | instskip(SKIP_1) | instid1(VALU_DEP_2)
	v_fma_f64 v[200:201], v[130:131], s[28:29], -v[198:199]
	v_fma_f64 v[192:193], v[130:131], s[28:29], v[198:199]
	v_add_f64_e32 v[24:25], v[200:201], v[24:25]
	v_mul_f64_e32 v[200:201], s[14:15], v[164:165]
	s_delay_alu instid0(VALU_DEP_3) | instskip(NEXT) | instid1(VALU_DEP_2)
	v_add_f64_e32 v[28:29], v[192:193], v[28:29]
	v_fma_f64 v[202:203], v[132:133], s[26:27], v[200:201]
	v_fma_f64 v[192:193], v[132:133], s[26:27], -v[200:201]
	s_delay_alu instid0(VALU_DEP_2) | instskip(SKIP_1) | instid1(VALU_DEP_3)
	;; [unrolled: 13-line block ×4, first 2 shown]
	v_add_f64_e32 v[26:27], v[210:211], v[26:27]
	v_mul_f64_e32 v[210:211], s[44:45], v[174:175]
	v_add_f64_e32 v[30:31], v[192:193], v[30:31]
	s_mov_b32 s45, 0x3fc7851a
	s_mov_b32 s44, s0
	s_wait_alu 0xfffe
	v_mul_f64_e32 v[244:245], s[44:45], v[160:161]
	v_mul_f64_e32 v[238:239], s[44:45], v[162:163]
	s_delay_alu instid0(VALU_DEP_4) | instskip(SKIP_1) | instid1(VALU_DEP_2)
	v_fma_f64 v[212:213], v[142:143], s[20:21], -v[210:211]
	v_fma_f64 v[192:193], v[142:143], s[20:21], v[210:211]
	v_add_f64_e32 v[24:25], v[212:213], v[24:25]
	v_mul_f64_e32 v[212:213], s[40:41], v[180:181]
	s_delay_alu instid0(VALU_DEP_3) | instskip(NEXT) | instid1(VALU_DEP_2)
	v_add_f64_e32 v[28:29], v[192:193], v[28:29]
	v_fma_f64 v[214:215], v[144:145], s[34:35], v[212:213]
	v_fma_f64 v[192:193], v[144:145], s[34:35], -v[212:213]
	s_delay_alu instid0(VALU_DEP_2) | instskip(SKIP_1) | instid1(VALU_DEP_3)
	v_add_f64_e32 v[26:27], v[214:215], v[26:27]
	v_mul_f64_e32 v[214:215], s[40:41], v[182:183]
	v_add_f64_e32 v[30:31], v[192:193], v[30:31]
	s_delay_alu instid0(VALU_DEP_2) | instskip(SKIP_1) | instid1(VALU_DEP_2)
	v_fma_f64 v[216:217], v[146:147], s[34:35], -v[214:215]
	v_fma_f64 v[192:193], v[146:147], s[34:35], v[214:215]
	v_add_f64_e32 v[24:25], v[216:217], v[24:25]
	v_mul_f64_e32 v[216:217], s[6:7], v[184:185]
	s_delay_alu instid0(VALU_DEP_3) | instskip(NEXT) | instid1(VALU_DEP_2)
	v_add_f64_e32 v[28:29], v[192:193], v[28:29]
	v_fma_f64 v[218:219], v[148:149], s[24:25], v[216:217]
	v_fma_f64 v[192:193], v[148:149], s[24:25], -v[216:217]
	s_delay_alu instid0(VALU_DEP_2) | instskip(SKIP_1) | instid1(VALU_DEP_3)
	v_add_f64_e32 v[26:27], v[218:219], v[26:27]
	v_mul_f64_e32 v[218:219], s[6:7], v[186:187]
	v_add_f64_e32 v[30:31], v[192:193], v[30:31]
	v_mul_f64_e32 v[192:193], s[0:1], v[156:157]
	s_delay_alu instid0(VALU_DEP_3) | instskip(SKIP_1) | instid1(VALU_DEP_2)
	v_fma_f64 v[194:195], v[150:151], s[24:25], v[218:219]
	v_fma_f64 v[220:221], v[150:151], s[24:25], -v[218:219]
	v_add_f64_e32 v[28:29], v[194:195], v[28:29]
	s_delay_alu instid0(VALU_DEP_4) | instskip(SKIP_1) | instid1(VALU_DEP_4)
	v_fma_f64 v[194:195], v[124:125], s[30:31], v[192:193]
	v_fma_f64 v[192:193], v[124:125], s[30:31], -v[192:193]
	v_add_f64_e32 v[24:25], v[220:221], v[24:25]
	s_delay_alu instid0(VALU_DEP_3) | instskip(SKIP_1) | instid1(VALU_DEP_4)
	v_add_f64_e32 v[34:35], v[194:195], v[34:35]
	v_mul_f64_e32 v[194:195], s[0:1], v[158:159]
	v_add_f64_e32 v[38:39], v[192:193], v[38:39]
	s_delay_alu instid0(VALU_DEP_2) | instskip(SKIP_1) | instid1(VALU_DEP_2)
	v_fma_f64 v[196:197], v[126:127], s[30:31], -v[194:195]
	v_fma_f64 v[192:193], v[126:127], s[30:31], v[194:195]
	v_add_f64_e32 v[32:33], v[196:197], v[32:33]
	v_mul_f64_e32 v[196:197], s[46:47], v[160:161]
	s_delay_alu instid0(VALU_DEP_3) | instskip(NEXT) | instid1(VALU_DEP_2)
	v_add_f64_e32 v[36:37], v[192:193], v[36:37]
	v_fma_f64 v[198:199], v[128:129], s[18:19], v[196:197]
	v_fma_f64 v[192:193], v[128:129], s[18:19], -v[196:197]
	s_delay_alu instid0(VALU_DEP_2) | instskip(SKIP_1) | instid1(VALU_DEP_3)
	v_add_f64_e32 v[34:35], v[198:199], v[34:35]
	v_mul_f64_e32 v[198:199], s[46:47], v[162:163]
	v_add_f64_e32 v[38:39], v[192:193], v[38:39]
	s_delay_alu instid0(VALU_DEP_2) | instskip(SKIP_1) | instid1(VALU_DEP_2)
	v_fma_f64 v[200:201], v[130:131], s[18:19], -v[198:199]
	v_fma_f64 v[192:193], v[130:131], s[18:19], v[198:199]
	v_add_f64_e32 v[32:33], v[200:201], v[32:33]
	v_mul_f64_e32 v[200:201], s[36:37], v[164:165]
	s_delay_alu instid0(VALU_DEP_3) | instskip(NEXT) | instid1(VALU_DEP_2)
	v_add_f64_e32 v[36:37], v[192:193], v[36:37]
	v_fma_f64 v[202:203], v[132:133], s[34:35], v[200:201]
	v_fma_f64 v[192:193], v[132:133], s[34:35], -v[200:201]
	s_delay_alu instid0(VALU_DEP_2) | instskip(SKIP_1) | instid1(VALU_DEP_3)
	;; [unrolled: 13-line block ×3, first 2 shown]
	v_add_f64_e32 v[34:35], v[206:207], v[34:35]
	v_mul_f64_e32 v[206:207], s[14:15], v[170:171]
	v_add_f64_e32 v[38:39], v[192:193], v[38:39]
	s_delay_alu instid0(VALU_DEP_2) | instskip(SKIP_1) | instid1(VALU_DEP_2)
	v_fma_f64 v[208:209], v[138:139], s[26:27], -v[206:207]
	v_fma_f64 v[192:193], v[138:139], s[26:27], v[206:207]
	v_add_f64_e32 v[32:33], v[208:209], v[32:33]
	v_mul_f64_e32 v[208:209], s[2:3], v[172:173]
	s_delay_alu instid0(VALU_DEP_3) | instskip(NEXT) | instid1(VALU_DEP_2)
	v_add_f64_e32 v[36:37], v[192:193], v[36:37]
	v_fma_f64 v[210:211], v[140:141], s[22:23], v[208:209]
	v_fma_f64 v[192:193], v[140:141], s[22:23], -v[208:209]
	v_mul_f64_e32 v[208:209], s[12:13], v[182:183]
	s_delay_alu instid0(VALU_DEP_3) | instskip(SKIP_1) | instid1(VALU_DEP_4)
	v_add_f64_e32 v[34:35], v[210:211], v[34:35]
	v_mul_f64_e32 v[210:211], s[2:3], v[174:175]
	v_add_f64_e32 v[38:39], v[192:193], v[38:39]
	s_delay_alu instid0(VALU_DEP_2) | instskip(SKIP_2) | instid1(VALU_DEP_3)
	v_fma_f64 v[212:213], v[142:143], s[22:23], -v[210:211]
	v_fma_f64 v[192:193], v[142:143], s[22:23], v[210:211]
	v_mul_f64_e32 v[210:211], s[2:3], v[184:185]
	v_add_f64_e32 v[32:33], v[212:213], v[32:33]
	v_mul_f64_e32 v[212:213], s[48:49], v[180:181]
	s_delay_alu instid0(VALU_DEP_4) | instskip(NEXT) | instid1(VALU_DEP_2)
	v_add_f64_e32 v[36:37], v[192:193], v[36:37]
	v_fma_f64 v[214:215], v[144:145], s[24:25], v[212:213]
	v_fma_f64 v[192:193], v[144:145], s[24:25], -v[212:213]
	v_mul_f64_e32 v[212:213], s[2:3], v[186:187]
	s_delay_alu instid0(VALU_DEP_3) | instskip(SKIP_1) | instid1(VALU_DEP_4)
	v_add_f64_e32 v[34:35], v[214:215], v[34:35]
	v_mul_f64_e32 v[214:215], s[48:49], v[182:183]
	v_add_f64_e32 v[38:39], v[192:193], v[38:39]
	s_delay_alu instid0(VALU_DEP_2) | instskip(SKIP_1) | instid1(VALU_DEP_2)
	v_fma_f64 v[216:217], v[146:147], s[24:25], -v[214:215]
	v_fma_f64 v[192:193], v[146:147], s[24:25], v[214:215]
	v_add_f64_e32 v[32:33], v[216:217], v[32:33]
	v_mul_f64_e32 v[216:217], s[42:43], v[184:185]
	s_delay_alu instid0(VALU_DEP_3) | instskip(NEXT) | instid1(VALU_DEP_2)
	v_add_f64_e32 v[36:37], v[192:193], v[36:37]
	v_fma_f64 v[192:193], v[148:149], s[28:29], -v[216:217]
	v_fma_f64 v[218:219], v[148:149], s[28:29], v[216:217]
	s_delay_alu instid0(VALU_DEP_2) | instskip(SKIP_1) | instid1(VALU_DEP_3)
	v_add_f64_e32 v[38:39], v[192:193], v[38:39]
	v_fma_f64 v[192:193], v[124:125], s[24:25], -v[248:249]
	v_add_f64_e32 v[34:35], v[218:219], v[34:35]
	v_mul_f64_e32 v[218:219], s[42:43], v[186:187]
	v_fma_f64 v[248:249], v[124:125], s[24:25], v[248:249]
	s_delay_alu instid0(VALU_DEP_4) | instskip(SKIP_1) | instid1(VALU_DEP_4)
	v_add_f64_e32 v[42:43], v[192:193], v[42:43]
	v_fma_f64 v[192:193], v[126:127], s[24:25], v[242:243]
	v_fma_f64 v[194:195], v[150:151], s[28:29], v[218:219]
	v_fma_f64 v[220:221], v[150:151], s[28:29], -v[218:219]
	v_fma_f64 v[242:243], v[126:127], s[24:25], -v[242:243]
	v_add_f64_e32 v[190:191], v[248:249], v[190:191]
	v_add_f64_e32 v[40:41], v[192:193], v[40:41]
	v_fma_f64 v[192:193], v[128:129], s[30:31], -v[244:245]
	v_add_f64_e32 v[36:37], v[194:195], v[36:37]
	v_add_f64_e32 v[32:33], v[220:221], v[32:33]
	;; [unrolled: 1-line block ×3, first 2 shown]
	v_fma_f64 v[242:243], v[128:129], s[30:31], v[244:245]
	v_add_f64_e32 v[42:43], v[192:193], v[42:43]
	v_fma_f64 v[192:193], v[130:131], s[30:31], v[238:239]
	v_fma_f64 v[238:239], v[130:131], s[30:31], -v[238:239]
	s_delay_alu instid0(VALU_DEP_4) | instskip(NEXT) | instid1(VALU_DEP_3)
	v_add_f64_e32 v[190:191], v[242:243], v[190:191]
	v_add_f64_e32 v[40:41], v[192:193], v[40:41]
	v_fma_f64 v[192:193], v[132:133], s[18:19], -v[240:241]
	s_delay_alu instid0(VALU_DEP_4) | instskip(SKIP_1) | instid1(VALU_DEP_3)
	v_add_f64_e32 v[188:189], v[238:239], v[188:189]
	v_fma_f64 v[238:239], v[132:133], s[18:19], v[240:241]
	v_add_f64_e32 v[42:43], v[192:193], v[42:43]
	v_fma_f64 v[192:193], v[134:135], s[18:19], v[234:235]
	v_fma_f64 v[234:235], v[134:135], s[18:19], -v[234:235]
	s_delay_alu instid0(VALU_DEP_4) | instskip(NEXT) | instid1(VALU_DEP_3)
	v_add_f64_e32 v[190:191], v[238:239], v[190:191]
	v_add_f64_e32 v[40:41], v[192:193], v[40:41]
	v_fma_f64 v[192:193], v[136:137], s[28:29], -v[236:237]
	s_delay_alu instid0(VALU_DEP_4) | instskip(SKIP_1) | instid1(VALU_DEP_3)
	v_add_f64_e32 v[188:189], v[234:235], v[188:189]
	;; [unrolled: 10-line block ×4, first 2 shown]
	v_fma_f64 v[226:227], v[144:145], s[20:21], v[228:229]
	v_add_f64_e32 v[42:43], v[192:193], v[42:43]
	v_fma_f64 v[192:193], v[146:147], s[20:21], v[208:209]
	v_fma_f64 v[208:209], v[146:147], s[20:21], -v[208:209]
	s_delay_alu instid0(VALU_DEP_4) | instskip(NEXT) | instid1(VALU_DEP_3)
	v_add_f64_e32 v[190:191], v[226:227], v[190:191]
	v_add_f64_e32 v[40:41], v[192:193], v[40:41]
	v_fma_f64 v[192:193], v[148:149], s[22:23], -v[210:211]
	s_delay_alu instid0(VALU_DEP_4) | instskip(SKIP_2) | instid1(VALU_DEP_4)
	v_add_f64_e32 v[188:189], v[208:209], v[188:189]
	v_fma_f64 v[208:209], v[148:149], s[22:23], v[210:211]
	v_fma_f64 v[210:211], v[150:151], s[22:23], -v[212:213]
	v_add_f64_e32 v[42:43], v[192:193], v[42:43]
	v_fma_f64 v[192:193], v[150:151], s[22:23], v[212:213]
	s_delay_alu instid0(VALU_DEP_4) | instskip(NEXT) | instid1(VALU_DEP_4)
	v_add_f64_e32 v[190:191], v[208:209], v[190:191]
	v_add_f64_e32 v[188:189], v[210:211], v[188:189]
	s_delay_alu instid0(VALU_DEP_3) | instskip(SKIP_2) | instid1(VALU_DEP_2)
	v_add_f64_e32 v[40:41], v[192:193], v[40:41]
	v_mul_f64_e32 v[192:193], s[12:13], v[156:157]
	v_mul_f64_e32 v[156:157], s[16:17], v[156:157]
	v_fma_f64 v[194:195], v[124:125], s[20:21], -v[192:193]
	v_fma_f64 v[192:193], v[124:125], s[20:21], v[192:193]
	s_delay_alu instid0(VALU_DEP_3) | instskip(NEXT) | instid1(VALU_DEP_3)
	v_fma_f64 v[52:53], v[124:125], s[28:29], v[156:157]
	v_add_f64_e32 v[46:47], v[194:195], v[46:47]
	v_mul_f64_e32 v[194:195], s[12:13], v[158:159]
	s_delay_alu instid0(VALU_DEP_4) | instskip(SKIP_2) | instid1(VALU_DEP_4)
	v_add_f64_e32 v[178:179], v[192:193], v[178:179]
	v_mul_f64_e32 v[158:159], s[16:17], v[158:159]
	v_add_f64_e32 v[52:53], v[52:53], v[116:117]
	v_fma_f64 v[196:197], v[126:127], s[20:21], v[194:195]
	v_fma_f64 v[192:193], v[126:127], s[20:21], -v[194:195]
	s_delay_alu instid0(VALU_DEP_4) | instskip(NEXT) | instid1(VALU_DEP_3)
	v_fma_f64 v[54:55], v[126:127], s[28:29], -v[158:159]
	v_add_f64_e32 v[44:45], v[196:197], v[44:45]
	v_mul_f64_e32 v[196:197], s[6:7], v[160:161]
	s_delay_alu instid0(VALU_DEP_4) | instskip(SKIP_2) | instid1(VALU_DEP_4)
	v_add_f64_e32 v[176:177], v[192:193], v[176:177]
	v_mul_f64_e32 v[160:161], s[14:15], v[160:161]
	v_add_f64_e32 v[54:55], v[54:55], v[118:119]
	v_fma_f64 v[198:199], v[128:129], s[24:25], -v[196:197]
	v_fma_f64 v[192:193], v[128:129], s[24:25], v[196:197]
	s_delay_alu instid0(VALU_DEP_4) | instskip(NEXT) | instid1(VALU_DEP_3)
	v_fma_f64 v[56:57], v[128:129], s[26:27], v[160:161]
	v_add_f64_e32 v[46:47], v[198:199], v[46:47]
	v_mul_f64_e32 v[198:199], s[6:7], v[162:163]
	s_delay_alu instid0(VALU_DEP_4) | instskip(SKIP_2) | instid1(VALU_DEP_4)
	v_add_f64_e32 v[178:179], v[192:193], v[178:179]
	v_mul_f64_e32 v[162:163], s[14:15], v[162:163]
	v_add_f64_e32 v[52:53], v[56:57], v[52:53]
	v_fma_f64 v[200:201], v[130:131], s[24:25], v[198:199]
	v_fma_f64 v[192:193], v[130:131], s[24:25], -v[198:199]
	s_delay_alu instid0(VALU_DEP_4) | instskip(NEXT) | instid1(VALU_DEP_3)
	v_fma_f64 v[58:59], v[130:131], s[26:27], -v[162:163]
	v_add_f64_e32 v[44:45], v[200:201], v[44:45]
	v_mul_f64_e32 v[200:201], s[0:1], v[164:165]
	s_delay_alu instid0(VALU_DEP_4) | instskip(SKIP_2) | instid1(VALU_DEP_4)
	v_add_f64_e32 v[176:177], v[192:193], v[176:177]
	v_mul_f64_e32 v[164:165], s[12:13], v[164:165]
	v_add_f64_e32 v[54:55], v[58:59], v[54:55]
	v_fma_f64 v[202:203], v[132:133], s[30:31], -v[200:201]
	v_fma_f64 v[192:193], v[132:133], s[30:31], v[200:201]
	s_delay_alu instid0(VALU_DEP_4) | instskip(NEXT) | instid1(VALU_DEP_3)
	;; [unrolled: 20-line block ×5, first 2 shown]
	v_fma_f64 v[56:57], v[144:145], s[22:23], v[180:181]
	v_add_f64_e32 v[46:47], v[220:221], v[46:47]
	v_mul_f64_e32 v[220:221], s[38:39], v[182:183]
	s_delay_alu instid0(VALU_DEP_4) | instskip(SKIP_2) | instid1(VALU_DEP_4)
	v_add_f64_e32 v[178:179], v[192:193], v[178:179]
	v_mul_f64_e32 v[182:183], s[2:3], v[182:183]
	v_add_f64_e32 v[52:53], v[56:57], v[52:53]
	v_fma_f64 v[222:223], v[146:147], s[26:27], v[220:221]
	v_fma_f64 v[192:193], v[146:147], s[26:27], -v[220:221]
	s_delay_alu instid0(VALU_DEP_4) | instskip(NEXT) | instid1(VALU_DEP_3)
	v_fma_f64 v[58:59], v[146:147], s[22:23], -v[182:183]
	v_add_f64_e32 v[44:45], v[222:223], v[44:45]
	v_mul_f64_e32 v[222:223], s[36:37], v[184:185]
	s_delay_alu instid0(VALU_DEP_4) | instskip(SKIP_2) | instid1(VALU_DEP_4)
	v_add_f64_e32 v[176:177], v[192:193], v[176:177]
	v_mul_f64_e32 v[184:185], s[0:1], v[184:185]
	v_add_f64_e32 v[56:57], v[58:59], v[54:55]
	v_fma_f64 v[192:193], v[148:149], s[34:35], v[222:223]
	v_fma_f64 v[224:225], v[148:149], s[34:35], -v[222:223]
	s_delay_alu instid0(VALU_DEP_4) | instskip(NEXT) | instid1(VALU_DEP_3)
	v_fma_f64 v[60:61], v[148:149], s[30:31], v[184:185]
	v_add_f64_e32 v[178:179], v[192:193], v[178:179]
	v_fma_f64 v[192:193], v[124:125], s[28:29], -v[156:157]
	s_delay_alu instid0(VALU_DEP_4)
	v_add_f64_e32 v[46:47], v[224:225], v[46:47]
	v_mul_f64_e32 v[224:225], s[36:37], v[186:187]
	v_mul_f64_e32 v[186:187], s[0:1], v[186:187]
	v_add_f64_e32 v[54:55], v[60:61], v[52:53]
	v_add_f64_e32 v[154:155], v[192:193], v[154:155]
	v_fma_f64 v[192:193], v[126:127], s[28:29], v[158:159]
	v_fma_f64 v[250:251], v[150:151], s[34:35], v[224:225]
	v_fma_f64 v[194:195], v[150:151], s[34:35], -v[224:225]
	v_fma_f64 v[62:63], v[150:151], s[30:31], -v[186:187]
	s_delay_alu instid0(VALU_DEP_4)
	v_add_f64_e32 v[152:153], v[192:193], v[152:153]
	v_fma_f64 v[192:193], v[128:129], s[26:27], -v[160:161]
	v_add_f64_e32 v[44:45], v[250:251], v[44:45]
	v_add_f64_e32 v[176:177], v[194:195], v[176:177]
	;; [unrolled: 1-line block ×3, first 2 shown]
	v_and_b32_e32 v56, 0xffff, v69
	v_lshlrev_b32_e32 v57, 4, v247
	s_delay_alu instid0(VALU_DEP_2) | instskip(NEXT) | instid1(VALU_DEP_1)
	v_mul_u32_u24_e32 v56, 0x330, v56
	v_add3_u32 v56, 0, v56, v57
	v_add_f64_e32 v[154:155], v[192:193], v[154:155]
	v_fma_f64 v[192:193], v[130:131], s[26:27], v[162:163]
	s_delay_alu instid0(VALU_DEP_1) | instskip(SKIP_1) | instid1(VALU_DEP_1)
	v_add_f64_e32 v[152:153], v[192:193], v[152:153]
	v_fma_f64 v[192:193], v[132:133], s[20:21], -v[164:165]
	v_add_f64_e32 v[154:155], v[192:193], v[154:155]
	v_fma_f64 v[192:193], v[134:135], s[20:21], v[166:167]
	s_delay_alu instid0(VALU_DEP_1) | instskip(SKIP_1) | instid1(VALU_DEP_1)
	v_add_f64_e32 v[152:153], v[192:193], v[152:153]
	v_fma_f64 v[192:193], v[136:137], s[18:19], -v[168:169]
	;; [unrolled: 5-line block ×5, first 2 shown]
	v_add_f64_e32 v[154:155], v[192:193], v[154:155]
	v_fma_f64 v[192:193], v[150:151], s[30:31], v[186:187]
	s_delay_alu instid0(VALU_DEP_1)
	v_add_f64_e32 v[152:153], v[192:193], v[152:153]
	ds_store_b128 v56, v[44:47] offset:96
	ds_store_b128 v56, v[40:43] offset:144
	ds_store_b128 v56, v[36:39] offset:192
	ds_store_b128 v56, v[28:31] offset:240
	ds_store_b128 v56, v[20:23] offset:288
	ds_store_b128 v56, v[12:15] offset:336
	ds_store_b128 v56, v[4:7] offset:384
	ds_store_b128 v56, v[0:3] offset:432
	ds_store_b128 v56, v[8:11] offset:480
	ds_store_b128 v56, v[16:19] offset:528
	ds_store_b128 v56, v[24:27] offset:576
	ds_store_b128 v56, v[32:35] offset:624
	ds_store_b128 v56, v[188:191] offset:672
	ds_store_b128 v56, v[176:179] offset:720
	ds_store_b128 v56, v[48:51]
	ds_store_b128 v56, v[152:155] offset:48
	ds_store_b128 v56, v[52:55] offset:768
.LBB0_23:
	s_or_b32 exec_lo, exec_lo, s33
	v_mul_u32_u24_e32 v0, 6, v68
	global_wb scope:SCOPE_SE
	s_wait_dscnt 0x0
	s_barrier_signal -1
	s_barrier_wait -1
	global_inv scope:SCOPE_SE
	v_lshlrev_b32_e32 v20, 4, v0
	s_mov_b32 s0, 0x37e14327
	s_mov_b32 s2, 0x36b3c0b5
	;; [unrolled: 1-line block ×4, first 2 shown]
	s_clause 0x5
	global_load_b128 v[0:3], v20, s[4:5] offset:768
	global_load_b128 v[4:7], v20, s[4:5] offset:784
	;; [unrolled: 1-line block ×6, first 2 shown]
	ds_load_b128 v[24:27], v246 offset:1632
	ds_load_b128 v[28:31], v246 offset:3264
	;; [unrolled: 1-line block ×12, first 2 shown]
	s_mov_b32 s1, 0x3fe948f6
	s_mov_b32 s3, 0x3fac98ee
	s_mov_b32 s7, 0x3fe11646
	s_mov_b32 s11, 0xbfebfeb5
	s_mov_b32 s12, 0xaaaaaaaa
	s_mov_b32 s14, 0xb247c609
	s_mov_b32 s13, 0xbff2aaaa
	s_mov_b32 s15, 0xbfd5d0dc
	s_mov_b32 s17, 0x3fd5d0dc
	s_wait_alu 0xfffe
	s_mov_b32 s16, s14
	s_wait_loadcnt_dscnt 0x50b
	v_mul_f64_e32 v[80:81], v[26:27], v[2:3]
	v_mul_f64_e32 v[82:83], v[24:25], v[2:3]
	s_wait_loadcnt_dscnt 0x40a
	v_mul_f64_e32 v[84:85], v[30:31], v[6:7]
	v_mul_f64_e32 v[86:87], v[28:29], v[6:7]
	;; [unrolled: 3-line block ×4, first 2 shown]
	s_wait_dscnt 0x7
	v_mul_f64_e32 v[96:97], v[42:43], v[2:3]
	v_mul_f64_e32 v[2:3], v[40:41], v[2:3]
	s_wait_dscnt 0x6
	v_mul_f64_e32 v[98:99], v[46:47], v[6:7]
	v_mul_f64_e32 v[6:7], v[44:45], v[6:7]
	;; [unrolled: 3-line block ×4, first 2 shown]
	s_wait_loadcnt_dscnt 0x102
	v_mul_f64_e32 v[104:105], v[62:63], v[18:19]
	v_mul_f64_e32 v[106:107], v[60:61], v[18:19]
	s_wait_loadcnt 0x0
	v_mul_f64_e32 v[108:109], v[58:59], v[22:23]
	v_mul_f64_e32 v[110:111], v[56:57], v[22:23]
	v_fma_f64 v[24:25], v[24:25], v[0:1], v[80:81]
	v_fma_f64 v[26:27], v[26:27], v[0:1], -v[82:83]
	v_fma_f64 v[28:29], v[28:29], v[4:5], v[84:85]
	v_fma_f64 v[30:31], v[30:31], v[4:5], -v[86:87]
	;; [unrolled: 2-line block ×4, first 2 shown]
	s_wait_dscnt 0x1
	v_mul_f64_e32 v[80:81], v[66:67], v[18:19]
	v_mul_f64_e32 v[18:19], v[64:65], v[18:19]
	s_wait_dscnt 0x0
	v_mul_f64_e32 v[82:83], v[78:79], v[22:23]
	v_mul_f64_e32 v[22:23], v[76:77], v[22:23]
	v_fma_f64 v[40:41], v[40:41], v[0:1], v[96:97]
	v_fma_f64 v[0:1], v[42:43], v[0:1], -v[2:3]
	v_fma_f64 v[2:3], v[44:45], v[4:5], v[98:99]
	v_fma_f64 v[4:5], v[46:47], v[4:5], -v[6:7]
	;; [unrolled: 2-line block ×6, first 2 shown]
	v_add_f64_e32 v[48:49], v[24:25], v[32:33]
	v_add_f64_e32 v[50:51], v[26:27], v[34:35]
	;; [unrolled: 1-line block ×4, first 2 shown]
	v_fma_f64 v[56:57], v[64:65], v[16:17], v[80:81]
	v_fma_f64 v[16:17], v[66:67], v[16:17], -v[18:19]
	v_fma_f64 v[18:19], v[76:77], v[20:21], v[82:83]
	v_fma_f64 v[20:21], v[78:79], v[20:21], -v[22:23]
	v_add_f64_e64 v[28:29], v[28:29], -v[36:37]
	v_add_f64_e64 v[30:31], v[30:31], -v[38:39]
	;; [unrolled: 1-line block ×4, first 2 shown]
	v_add_f64_e32 v[22:23], v[40:41], v[6:7]
	v_add_f64_e32 v[58:59], v[0:1], v[8:9]
	;; [unrolled: 1-line block ×4, first 2 shown]
	v_add_f64_e64 v[10:11], v[2:3], -v[10:11]
	v_add_f64_e64 v[12:13], v[4:5], -v[12:13]
	v_add_f64_e32 v[64:65], v[14:15], v[44:45]
	v_add_f64_e32 v[66:67], v[42:43], v[46:47]
	v_add_f64_e64 v[14:15], v[44:45], -v[14:15]
	v_add_f64_e64 v[36:37], v[46:47], -v[42:43]
	;; [unrolled: 1-line block ×3, first 2 shown]
	v_add_f64_e32 v[32:33], v[52:53], v[48:49]
	v_add_f64_e32 v[34:35], v[54:55], v[50:51]
	;; [unrolled: 1-line block ×4, first 2 shown]
	v_add_f64_e64 v[18:19], v[18:19], -v[56:57]
	v_add_f64_e64 v[16:17], v[20:21], -v[16:17]
	;; [unrolled: 1-line block ×5, first 2 shown]
	ds_load_b128 v[0:3], v246
	ds_load_b128 v[4:7], v246 offset:816
	v_add_f64_e32 v[40:41], v[60:61], v[22:23]
	v_add_f64_e32 v[44:45], v[62:63], v[58:59]
	global_wb scope:SCOPE_SE
	s_wait_dscnt 0x0
	s_barrier_signal -1
	v_add_f64_e64 v[46:47], v[48:49], -v[64:65]
	v_add_f64_e64 v[56:57], v[50:51], -v[66:67]
	v_add_f64_e64 v[76:77], v[64:65], -v[52:53]
	v_add_f64_e64 v[78:79], v[66:67], -v[54:55]
	v_add_f64_e64 v[80:81], v[14:15], -v[28:29]
	v_add_f64_e64 v[82:83], v[36:37], -v[30:31]
	v_add_f64_e64 v[94:95], v[12:13], -v[8:9]
	v_add_f64_e64 v[48:49], v[52:53], -v[48:49]
	v_add_f64_e64 v[50:51], v[54:55], -v[50:51]
	v_add_f64_e32 v[28:29], v[14:15], v[28:29]
	v_add_f64_e32 v[30:31], v[36:37], v[30:31]
	v_add_f64_e64 v[14:15], v[24:25], -v[14:15]
	v_add_f64_e64 v[36:37], v[26:27], -v[36:37]
	s_barrier_wait -1
	global_inv scope:SCOPE_SE
	v_add_f64_e32 v[32:33], v[64:65], v[32:33]
	v_add_f64_e32 v[34:35], v[66:67], v[34:35]
	v_add_f64_e64 v[64:65], v[22:23], -v[38:39]
	v_add_f64_e64 v[66:67], v[58:59], -v[42:43]
	;; [unrolled: 1-line block ×5, first 2 shown]
	v_add_f64_e32 v[10:11], v[18:19], v[10:11]
	v_add_f64_e32 v[12:13], v[16:17], v[12:13]
	v_mul_f64_e32 v[96:97], s[10:11], v[84:85]
	v_add_f64_e32 v[40:41], v[38:39], v[40:41]
	v_add_f64_e32 v[44:45], v[42:43], v[44:45]
	v_add_f64_e64 v[38:39], v[38:39], -v[60:61]
	v_add_f64_e64 v[42:43], v[42:43], -v[62:63]
	v_mul_f64_e32 v[46:47], s[0:1], v[46:47]
	v_mul_f64_e32 v[52:53], s[0:1], v[56:57]
	;; [unrolled: 1-line block ×7, first 2 shown]
	v_add_f64_e64 v[18:19], v[20:21], -v[18:19]
	v_add_f64_e64 v[16:17], v[8:9], -v[16:17]
	v_mul_f64_e32 v[102:103], s[10:11], v[94:95]
	v_add_f64_e64 v[22:23], v[60:61], -v[22:23]
	v_add_f64_e64 v[58:59], v[62:63], -v[58:59]
	v_add_f64_e32 v[24:25], v[28:29], v[24:25]
	v_add_f64_e32 v[26:27], v[30:31], v[26:27]
	;; [unrolled: 1-line block ×4, first 2 shown]
	v_mul_f64_e32 v[64:65], s[0:1], v[64:65]
	v_mul_f64_e32 v[66:67], s[0:1], v[66:67]
	;; [unrolled: 1-line block ×5, first 2 shown]
	s_mov_b32 s0, 0x5476071b
	s_mov_b32 s1, 0x3fe77f67
	;; [unrolled: 1-line block ×3, first 2 shown]
	v_add_f64_e32 v[4:5], v[4:5], v[40:41]
	v_add_f64_e32 v[6:7], v[6:7], v[44:45]
	v_mul_f64_e32 v[60:61], s[2:3], v[38:39]
	v_mul_f64_e32 v[62:63], s[2:3], v[42:43]
	s_wait_alu 0xfffe
	s_mov_b32 s6, s0
	v_add_f64_e32 v[10:11], v[10:11], v[20:21]
	v_add_f64_e32 v[8:9], v[12:13], v[8:9]
	v_fma_f64 v[12:13], v[76:77], s[2:3], v[46:47]
	v_fma_f64 v[20:21], v[78:79], s[2:3], v[52:53]
	v_fma_f64 v[28:29], v[48:49], s[0:1], -v[54:55]
	v_fma_f64 v[30:31], v[50:51], s[0:1], -v[56:57]
	v_fma_f64 v[54:55], v[14:15], s[14:15], v[80:81]
	v_fma_f64 v[56:57], v[36:37], s[14:15], v[82:83]
	v_fma_f64 v[76:77], v[84:85], s[10:11], -v[80:81]
	v_fma_f64 v[78:79], v[86:87], s[10:11], -v[82:83]
	;; [unrolled: 1-line block ×4, first 2 shown]
	s_wait_alu 0xfffe
	v_fma_f64 v[46:47], v[48:49], s[6:7], -v[46:47]
	v_fma_f64 v[48:49], v[50:51], s[6:7], -v[52:53]
	v_fma_f64 v[32:33], v[32:33], s[12:13], v[0:1]
	v_fma_f64 v[34:35], v[34:35], s[12:13], v[2:3]
	;; [unrolled: 1-line block ×6, first 2 shown]
	v_fma_f64 v[80:81], v[92:93], s[10:11], -v[88:89]
	v_fma_f64 v[82:83], v[94:95], s[10:11], -v[90:91]
	;; [unrolled: 1-line block ×4, first 2 shown]
	v_fma_f64 v[40:41], v[40:41], s[12:13], v[4:5]
	v_fma_f64 v[44:45], v[44:45], s[12:13], v[6:7]
	v_fma_f64 v[64:65], v[22:23], s[6:7], -v[64:65]
	v_fma_f64 v[66:67], v[58:59], s[6:7], -v[66:67]
	;; [unrolled: 1-line block ×4, first 2 shown]
	s_mov_b32 s0, 0x37c3f68c
	s_mov_b32 s1, 0xbfdc38aa
	s_wait_alu 0xfffe
	v_fma_f64 v[54:55], v[24:25], s[0:1], v[54:55]
	v_fma_f64 v[56:57], v[26:27], s[0:1], v[56:57]
	;; [unrolled: 1-line block ×6, first 2 shown]
	v_add_f64_e32 v[36:37], v[12:13], v[32:33]
	v_add_f64_e32 v[78:79], v[20:21], v[34:35]
	;; [unrolled: 1-line block ×6, first 2 shown]
	v_fma_f64 v[84:85], v[10:11], s[0:1], v[50:51]
	v_fma_f64 v[52:53], v[8:9], s[0:1], v[52:53]
	;; [unrolled: 1-line block ×6, first 2 shown]
	v_add_f64_e32 v[86:87], v[38:39], v[40:41]
	v_add_f64_e32 v[88:89], v[42:43], v[44:45]
	;; [unrolled: 1-line block ×7, first 2 shown]
	v_add_f64_e64 v[10:11], v[78:79], -v[54:55]
	v_add_f64_e32 v[12:13], v[24:25], v[26:27]
	v_add_f64_e64 v[14:15], v[46:47], -v[76:77]
	v_add_f64_e64 v[16:17], v[20:21], -v[62:63]
	v_add_f64_e32 v[18:19], v[60:61], v[28:29]
	v_add_f64_e32 v[20:21], v[62:63], v[20:21]
	v_add_f64_e64 v[22:23], v[28:29], -v[60:61]
	v_add_f64_e64 v[24:25], v[26:27], -v[24:25]
	v_add_f64_e32 v[26:27], v[76:77], v[46:47]
	v_add_f64_e64 v[28:29], v[36:37], -v[56:57]
	v_add_f64_e32 v[30:31], v[54:55], v[78:79]
	v_add_f64_e32 v[32:33], v[52:53], v[86:87]
	v_add_f64_e64 v[34:35], v[88:89], -v[84:85]
	v_add_f64_e32 v[36:37], v[82:83], v[64:65]
	v_add_f64_e64 v[38:39], v[66:67], -v[80:81]
	v_add_f64_e64 v[40:41], v[90:91], -v[50:51]
	v_add_f64_e32 v[42:43], v[48:49], v[58:59]
	v_add_f64_e32 v[44:45], v[50:51], v[90:91]
	v_add_f64_e64 v[46:47], v[58:59], -v[48:49]
	v_add_f64_e64 v[48:49], v[64:65], -v[82:83]
	v_add_f64_e32 v[50:51], v[80:81], v[66:67]
	v_add_f64_e64 v[52:53], v[86:87], -v[52:53]
	v_add_f64_e32 v[54:55], v[84:85], v[88:89]
	v_add_co_u32 v56, s0, s4, v72
	s_wait_alu 0xf1ff
	v_add_co_ci_u32_e64 v57, s0, s5, v73, s0
	v_add_co_u32 v58, s0, s4, v74
	s_wait_alu 0xf1ff
	v_add_co_ci_u32_e64 v59, s0, s5, v75, s0
	ds_store_b128 v246, v[0:3]
	ds_store_b128 v246, v[8:11] offset:816
	ds_store_b128 v246, v[12:15] offset:1632
	;; [unrolled: 1-line block ×13, first 2 shown]
	global_wb scope:SCOPE_SE
	s_wait_dscnt 0x0
	s_barrier_signal -1
	s_barrier_wait -1
	global_inv scope:SCOPE_SE
	s_clause 0x6
	global_load_b128 v[0:3], v[56:57], off offset:5664
	global_load_b128 v[4:7], v[58:59], off offset:6480
	global_load_b128 v[8:11], v[58:59], off offset:7296
	global_load_b128 v[12:15], v[58:59], off offset:8112
	global_load_b128 v[16:19], v[58:59], off offset:8928
	global_load_b128 v[20:23], v[58:59], off offset:9744
	global_load_b128 v[24:27], v[58:59], off offset:10560
	ds_load_b128 v[28:31], v246 offset:5712
	ds_load_b128 v[32:35], v246 offset:6528
	;; [unrolled: 1-line block ×8, first 2 shown]
	s_wait_loadcnt_dscnt 0x607
	v_mul_f64_e32 v[60:61], v[30:31], v[2:3]
	v_mul_f64_e32 v[2:3], v[28:29], v[2:3]
	s_wait_loadcnt_dscnt 0x506
	v_mul_f64_e32 v[62:63], v[34:35], v[6:7]
	v_mul_f64_e32 v[6:7], v[32:33], v[6:7]
	;; [unrolled: 3-line block ×7, first 2 shown]
	v_fma_f64 v[28:29], v[28:29], v[0:1], v[60:61]
	v_fma_f64 v[30:31], v[30:31], v[0:1], -v[2:3]
	v_fma_f64 v[32:33], v[32:33], v[4:5], v[62:63]
	v_fma_f64 v[34:35], v[34:35], v[4:5], -v[6:7]
	;; [unrolled: 2-line block ×7, first 2 shown]
	ds_load_b128 v[0:3], v246
	ds_load_b128 v[4:7], v246 offset:816
	ds_load_b128 v[8:11], v246 offset:1632
	;; [unrolled: 1-line block ×5, first 2 shown]
	global_wb scope:SCOPE_SE
	s_wait_dscnt 0x0
	s_barrier_signal -1
	s_barrier_wait -1
	global_inv scope:SCOPE_SE
	v_add_f64_e64 v[24:25], v[0:1], -v[28:29]
	v_add_f64_e64 v[26:27], v[2:3], -v[30:31]
	v_add_f64_e64 v[28:29], v[4:5], -v[32:33]
	v_add_f64_e64 v[30:31], v[6:7], -v[34:35]
	v_add_f64_e64 v[32:33], v[8:9], -v[36:37]
	v_add_f64_e64 v[34:35], v[10:11], -v[38:39]
	v_add_f64_e64 v[36:37], v[12:13], -v[40:41]
	v_add_f64_e64 v[38:39], v[14:15], -v[42:43]
	v_add_f64_e64 v[40:41], v[16:17], -v[44:45]
	v_add_f64_e64 v[42:43], v[18:19], -v[46:47]
	v_add_f64_e64 v[44:45], v[20:21], -v[48:49]
	v_add_f64_e64 v[46:47], v[22:23], -v[50:51]
	v_add_f64_e64 v[48:49], v[56:57], -v[52:53]
	v_add_f64_e64 v[50:51], v[58:59], -v[54:55]
	v_fma_f64 v[0:1], v[0:1], 2.0, -v[24:25]
	v_fma_f64 v[2:3], v[2:3], 2.0, -v[26:27]
	;; [unrolled: 1-line block ×14, first 2 shown]
	ds_store_b128 v246, v[28:31] offset:6528
	ds_store_b128 v246, v[32:35] offset:7344
	;; [unrolled: 1-line block ×6, first 2 shown]
	ds_store_b128 v246, v[0:3]
	ds_store_b128 v246, v[4:7] offset:816
	ds_store_b128 v246, v[8:11] offset:1632
	ds_store_b128 v246, v[12:15] offset:2448
	ds_store_b128 v246, v[16:19] offset:3264
	ds_store_b128 v246, v[20:23] offset:4080
	ds_store_b128 v246, v[24:27] offset:5712
	ds_store_b128 v246, v[52:55] offset:4896
	global_wb scope:SCOPE_SE
	s_wait_dscnt 0x0
	s_barrier_signal -1
	s_barrier_wait -1
	global_inv scope:SCOPE_SE
	s_and_saveexec_b32 s0, vcc_lo
	s_cbranch_execz .LBB0_25
; %bb.24:
	v_dual_mov_b32 v69, 0 :: v_dual_add_nc_u32 v8, 51, v68
	v_add_co_u32 v36, vcc_lo, s8, v70
	v_lshl_add_u32 v34, v68, 4, 0
	s_delay_alu instid0(VALU_DEP_3) | instskip(SKIP_4) | instid1(VALU_DEP_4)
	v_lshlrev_b64_e32 v[0:1], 4, v[68:69]
	s_wait_alu 0xfffd
	v_add_co_ci_u32_e32 v37, vcc_lo, s9, v71, vcc_lo
	v_dual_mov_b32 v9, v69 :: v_dual_add_nc_u32 v10, 0x66, v68
	v_dual_mov_b32 v11, v69 :: v_dual_add_nc_u32 v22, 0x99, v68
	v_add_co_u32 v16, vcc_lo, v36, v0
	s_wait_alu 0xfffd
	v_add_co_ci_u32_e32 v17, vcc_lo, v37, v1, vcc_lo
	ds_load_b128 v[0:3], v34
	ds_load_b128 v[4:7], v34 offset:816
	v_lshlrev_b64_e32 v[18:19], 4, v[8:9]
	v_lshlrev_b64_e32 v[20:21], 4, v[10:11]
	ds_load_b128 v[8:11], v34 offset:1632
	ds_load_b128 v[12:15], v34 offset:2448
	v_dual_mov_b32 v23, v69 :: v_dual_add_nc_u32 v24, 0xcc, v68
	v_mov_b32_e32 v25, v69
	v_add_co_u32 v18, vcc_lo, v36, v18
	s_delay_alu instid0(VALU_DEP_3)
	v_lshlrev_b64_e32 v[22:23], 4, v[22:23]
	s_wait_alu 0xfffd
	v_add_co_ci_u32_e32 v19, vcc_lo, v37, v19, vcc_lo
	v_add_co_u32 v20, vcc_lo, v36, v20
	s_wait_alu 0xfffd
	v_add_co_ci_u32_e32 v21, vcc_lo, v37, v21, vcc_lo
	v_add_co_u32 v22, vcc_lo, v36, v22
	s_wait_alu 0xfffd
	v_add_co_ci_u32_e32 v23, vcc_lo, v37, v23, vcc_lo
	s_wait_dscnt 0x3
	global_store_b128 v[16:17], v[0:3], off
	s_wait_dscnt 0x2
	global_store_b128 v[18:19], v[4:7], off
	s_wait_dscnt 0x1
	global_store_b128 v[20:21], v[8:11], off
	s_wait_dscnt 0x0
	global_store_b128 v[22:23], v[12:15], off
	v_add_nc_u32_e32 v8, 0xff, v68
	v_lshlrev_b64_e32 v[0:1], 4, v[24:25]
	v_dual_mov_b32 v9, v69 :: v_dual_add_nc_u32 v10, 0x132, v68
	v_dual_mov_b32 v11, v69 :: v_dual_add_nc_u32 v22, 0x165, v68
	;; [unrolled: 1-line block ×3, first 2 shown]
	s_delay_alu instid0(VALU_DEP_4)
	v_add_co_u32 v16, vcc_lo, v36, v0
	s_wait_alu 0xfffd
	v_add_co_ci_u32_e32 v17, vcc_lo, v37, v1, vcc_lo
	ds_load_b128 v[0:3], v34 offset:3264
	ds_load_b128 v[4:7], v34 offset:4080
	v_lshlrev_b64_e32 v[18:19], 4, v[8:9]
	v_lshlrev_b64_e32 v[20:21], 4, v[10:11]
	ds_load_b128 v[8:11], v34 offset:4896
	ds_load_b128 v[12:15], v34 offset:5712
	v_lshlrev_b64_e32 v[22:23], 4, v[22:23]
	v_add_co_u32 v18, vcc_lo, v36, v18
	s_wait_alu 0xfffd
	v_add_co_ci_u32_e32 v19, vcc_lo, v37, v19, vcc_lo
	v_add_co_u32 v20, vcc_lo, v36, v20
	s_wait_alu 0xfffd
	v_add_co_ci_u32_e32 v21, vcc_lo, v37, v21, vcc_lo
	v_add_co_u32 v22, vcc_lo, v36, v22
	s_wait_dscnt 0x3
	global_store_b128 v[16:17], v[0:3], off
	s_wait_dscnt 0x2
	global_store_b128 v[18:19], v[4:7], off
	v_dual_mov_b32 v3, v69 :: v_dual_add_nc_u32 v2, 0x1cb, v68
	s_wait_alu 0xfffd
	v_add_co_ci_u32_e32 v23, vcc_lo, v37, v23, vcc_lo
	v_lshlrev_b64_e32 v[0:1], 4, v[24:25]
	s_wait_dscnt 0x1
	global_store_b128 v[20:21], v[8:11], off
	s_wait_dscnt 0x0
	global_store_b128 v[22:23], v[12:15], off
	v_lshlrev_b64_e32 v[8:9], 4, v[2:3]
	v_dual_mov_b32 v11, v69 :: v_dual_add_nc_u32 v10, 0x1fe, v68
	v_add_co_u32 v24, vcc_lo, v36, v0
	s_wait_alu 0xfffd
	v_add_co_ci_u32_e32 v25, vcc_lo, v37, v1, vcc_lo
	s_delay_alu instid0(VALU_DEP_4)
	v_add_co_u32 v26, vcc_lo, v36, v8
	s_wait_alu 0xfffd
	v_add_co_ci_u32_e32 v27, vcc_lo, v37, v9, vcc_lo
	v_lshlrev_b64_e32 v[8:9], 4, v[10:11]
	v_dual_mov_b32 v17, v69 :: v_dual_add_nc_u32 v16, 0x231, v68
	v_dual_mov_b32 v19, v69 :: v_dual_add_nc_u32 v18, 0x264, v68
	ds_load_b128 v[0:3], v34 offset:6528
	ds_load_b128 v[4:7], v34 offset:7344
	v_add_co_u32 v28, vcc_lo, v36, v8
	s_wait_alu 0xfffd
	v_add_co_ci_u32_e32 v29, vcc_lo, v37, v9, vcc_lo
	ds_load_b128 v[8:11], v34 offset:8160
	ds_load_b128 v[12:15], v34 offset:8976
	v_lshlrev_b64_e32 v[30:31], 4, v[16:17]
	v_lshlrev_b64_e32 v[32:33], 4, v[18:19]
	ds_load_b128 v[16:19], v34 offset:9792
	ds_load_b128 v[20:23], v34 offset:10608
	v_add_nc_u32_e32 v68, 0x297, v68
	v_add_co_u32 v30, vcc_lo, v36, v30
	s_delay_alu instid0(VALU_DEP_2)
	v_lshlrev_b64_e32 v[34:35], 4, v[68:69]
	s_wait_alu 0xfffd
	v_add_co_ci_u32_e32 v31, vcc_lo, v37, v31, vcc_lo
	v_add_co_u32 v32, vcc_lo, v36, v32
	s_wait_alu 0xfffd
	v_add_co_ci_u32_e32 v33, vcc_lo, v37, v33, vcc_lo
	v_add_co_u32 v34, vcc_lo, v36, v34
	s_wait_alu 0xfffd
	v_add_co_ci_u32_e32 v35, vcc_lo, v37, v35, vcc_lo
	s_wait_dscnt 0x5
	global_store_b128 v[24:25], v[0:3], off
	s_wait_dscnt 0x4
	global_store_b128 v[26:27], v[4:7], off
	;; [unrolled: 2-line block ×6, first 2 shown]
.LBB0_25:
	s_nop 0
	s_sendmsg sendmsg(MSG_DEALLOC_VGPRS)
	s_endpgm
	.section	.rodata,"a",@progbits
	.p2align	6, 0x0
	.amdhsa_kernel fft_rtc_back_len714_factors_3_17_7_2_wgs_51_tpt_51_halfLds_dp_ip_CI_unitstride_sbrr_C2R_dirReg
		.amdhsa_group_segment_fixed_size 0
		.amdhsa_private_segment_fixed_size 0
		.amdhsa_kernarg_size 88
		.amdhsa_user_sgpr_count 2
		.amdhsa_user_sgpr_dispatch_ptr 0
		.amdhsa_user_sgpr_queue_ptr 0
		.amdhsa_user_sgpr_kernarg_segment_ptr 1
		.amdhsa_user_sgpr_dispatch_id 0
		.amdhsa_user_sgpr_private_segment_size 0
		.amdhsa_wavefront_size32 1
		.amdhsa_uses_dynamic_stack 0
		.amdhsa_enable_private_segment 0
		.amdhsa_system_sgpr_workgroup_id_x 1
		.amdhsa_system_sgpr_workgroup_id_y 0
		.amdhsa_system_sgpr_workgroup_id_z 0
		.amdhsa_system_sgpr_workgroup_info 0
		.amdhsa_system_vgpr_workitem_id 0
		.amdhsa_next_free_vgpr 252
		.amdhsa_next_free_sgpr 52
		.amdhsa_reserve_vcc 1
		.amdhsa_float_round_mode_32 0
		.amdhsa_float_round_mode_16_64 0
		.amdhsa_float_denorm_mode_32 3
		.amdhsa_float_denorm_mode_16_64 3
		.amdhsa_fp16_overflow 0
		.amdhsa_workgroup_processor_mode 1
		.amdhsa_memory_ordered 1
		.amdhsa_forward_progress 0
		.amdhsa_round_robin_scheduling 0
		.amdhsa_exception_fp_ieee_invalid_op 0
		.amdhsa_exception_fp_denorm_src 0
		.amdhsa_exception_fp_ieee_div_zero 0
		.amdhsa_exception_fp_ieee_overflow 0
		.amdhsa_exception_fp_ieee_underflow 0
		.amdhsa_exception_fp_ieee_inexact 0
		.amdhsa_exception_int_div_zero 0
	.end_amdhsa_kernel
	.text
.Lfunc_end0:
	.size	fft_rtc_back_len714_factors_3_17_7_2_wgs_51_tpt_51_halfLds_dp_ip_CI_unitstride_sbrr_C2R_dirReg, .Lfunc_end0-fft_rtc_back_len714_factors_3_17_7_2_wgs_51_tpt_51_halfLds_dp_ip_CI_unitstride_sbrr_C2R_dirReg
                                        ; -- End function
	.section	.AMDGPU.csdata,"",@progbits
; Kernel info:
; codeLenInByte = 13564
; NumSgprs: 54
; NumVgprs: 252
; ScratchSize: 0
; MemoryBound: 0
; FloatMode: 240
; IeeeMode: 1
; LDSByteSize: 0 bytes/workgroup (compile time only)
; SGPRBlocks: 6
; VGPRBlocks: 31
; NumSGPRsForWavesPerEU: 54
; NumVGPRsForWavesPerEU: 252
; Occupancy: 5
; WaveLimiterHint : 1
; COMPUTE_PGM_RSRC2:SCRATCH_EN: 0
; COMPUTE_PGM_RSRC2:USER_SGPR: 2
; COMPUTE_PGM_RSRC2:TRAP_HANDLER: 0
; COMPUTE_PGM_RSRC2:TGID_X_EN: 1
; COMPUTE_PGM_RSRC2:TGID_Y_EN: 0
; COMPUTE_PGM_RSRC2:TGID_Z_EN: 0
; COMPUTE_PGM_RSRC2:TIDIG_COMP_CNT: 0
	.text
	.p2alignl 7, 3214868480
	.fill 96, 4, 3214868480
	.type	__hip_cuid_b21e414f12297623,@object ; @__hip_cuid_b21e414f12297623
	.section	.bss,"aw",@nobits
	.globl	__hip_cuid_b21e414f12297623
__hip_cuid_b21e414f12297623:
	.byte	0                               ; 0x0
	.size	__hip_cuid_b21e414f12297623, 1

	.ident	"AMD clang version 19.0.0git (https://github.com/RadeonOpenCompute/llvm-project roc-6.4.0 25133 c7fe45cf4b819c5991fe208aaa96edf142730f1d)"
	.section	".note.GNU-stack","",@progbits
	.addrsig
	.addrsig_sym __hip_cuid_b21e414f12297623
	.amdgpu_metadata
---
amdhsa.kernels:
  - .args:
      - .actual_access:  read_only
        .address_space:  global
        .offset:         0
        .size:           8
        .value_kind:     global_buffer
      - .offset:         8
        .size:           8
        .value_kind:     by_value
      - .actual_access:  read_only
        .address_space:  global
        .offset:         16
        .size:           8
        .value_kind:     global_buffer
      - .actual_access:  read_only
        .address_space:  global
        .offset:         24
        .size:           8
        .value_kind:     global_buffer
      - .offset:         32
        .size:           8
        .value_kind:     by_value
      - .actual_access:  read_only
        .address_space:  global
        .offset:         40
        .size:           8
        .value_kind:     global_buffer
      - .actual_access:  read_only
        .address_space:  global
        .offset:         48
        .size:           8
        .value_kind:     global_buffer
      - .offset:         56
        .size:           4
        .value_kind:     by_value
      - .actual_access:  read_only
        .address_space:  global
        .offset:         64
        .size:           8
        .value_kind:     global_buffer
      - .actual_access:  read_only
        .address_space:  global
        .offset:         72
        .size:           8
        .value_kind:     global_buffer
      - .address_space:  global
        .offset:         80
        .size:           8
        .value_kind:     global_buffer
    .group_segment_fixed_size: 0
    .kernarg_segment_align: 8
    .kernarg_segment_size: 88
    .language:       OpenCL C
    .language_version:
      - 2
      - 0
    .max_flat_workgroup_size: 51
    .name:           fft_rtc_back_len714_factors_3_17_7_2_wgs_51_tpt_51_halfLds_dp_ip_CI_unitstride_sbrr_C2R_dirReg
    .private_segment_fixed_size: 0
    .sgpr_count:     54
    .sgpr_spill_count: 0
    .symbol:         fft_rtc_back_len714_factors_3_17_7_2_wgs_51_tpt_51_halfLds_dp_ip_CI_unitstride_sbrr_C2R_dirReg.kd
    .uniform_work_group_size: 1
    .uses_dynamic_stack: false
    .vgpr_count:     252
    .vgpr_spill_count: 0
    .wavefront_size: 32
    .workgroup_processor_mode: 1
amdhsa.target:   amdgcn-amd-amdhsa--gfx1201
amdhsa.version:
  - 1
  - 2
...

	.end_amdgpu_metadata
